;; amdgpu-corpus repo=ROCm/aiter kind=harvested arch=n/a opt=n/a

/root/src/amdgpu-assembly/repos/ROCm__aiter/hsa/gfx950/fmha_v3_bwd/bwd_hd128_fp16_swa_a32_psskddv.co:	file format elf64-amdgpu

Disassembly of section .text:

0000000000003e00 <_ZN5aiter45fmha_bwd_hd128_fp16_swa_a32_psskddv_recompileE>:
	s_and_b32 s1, s1, 0xffff                                   // 000000003E00: 8601FF01 0000FFFF
	s_load_dwordx2 s[32:33], s[0:1], 0x0                       // 000000003E08: C0060800 00000000
	s_load_dwordx2 s[36:37], s[0:1], 0x10                      // 000000003E10: C0060900 00000010
	s_load_dwordx2 s[40:41], s[0:1], 0x20                      // 000000003E18: C0060A00 00000020
	s_load_dwordx2 s[8:9], s[0:1], 0x30                        // 000000003E20: C0060200 00000030
	s_load_dwordx2 s[12:13], s[0:1], 0x40                      // 000000003E28: C0060300 00000040
	s_load_dwordx2 s[16:17], s[0:1], 0x50                      // 000000003E30: C0060400 00000050
	s_load_dwordx2 s[20:21], s[0:1], 0x60                      // 000000003E38: C0060500 00000060
	s_load_dwordx2 s[24:25], s[0:1], 0x70                      // 000000003E40: C0060600 00000070
	s_load_dwordx2 s[28:29], s[0:1], 0x80                      // 000000003E48: C0060700 00000080
	s_load_dword s47, s[0:1], 0x90                             // 000000003E50: C0020BC0 00000090
	s_load_dword s48, s[0:1], 0xa0                             // 000000003E58: C0020C00 000000A0
	s_load_dword s49, s[0:1], 0xb0                             // 000000003E60: C0020C40 000000B0
	s_load_dword s74, s[0:1], 0xd0                             // 000000003E68: C0021280 000000D0
	s_load_dword s75, s[0:1], 0xe0                             // 000000003E70: C00212C0 000000E0
	s_load_dword s5, s[0:1], 0xf0                              // 000000003E78: C0020140 000000F0
	s_load_dword s44, s[0:1], 0x100                            // 000000003E80: C0020B00 00000100
	s_load_dword s84, s[0:1], 0x110                            // 000000003E88: C0021500 00000110
	s_load_dword s85, s[0:1], 0x120                            // 000000003E90: C0021540 00000120
	s_load_dword s6, s[0:1], 0x130                             // 000000003E98: C0020180 00000130
	s_load_dword s52, s[0:1], 0x140                            // 000000003EA0: C0020D00 00000140
	s_load_dword s50, s[0:1], 0x150                            // 000000003EA8: C0020C80 00000150
	s_load_dword s94, s[0:1], 0x160                            // 000000003EB0: C0021780 00000160
	s_load_dword s96, s[0:1], 0x180                            // 000000003EB8: C0021800 00000180
	s_load_dword s86, s[0:1], 0x190                            // 000000003EC0: C0021580 00000190
	s_load_dword s87, s[0:1], 0x1a0                            // 000000003EC8: C00215C0 000001A0
	s_load_dword s7, s[0:1], 0x1b0                             // 000000003ED0: C00201C0 000001B0
	s_load_dword s88, s[0:1], 0x1c0                            // 000000003ED8: C0021600 000001C0
	s_load_dword s89, s[0:1], 0x1d0                            // 000000003EE0: C0021640 000001D0
	s_load_dword s51, s[0:1], 0x1e0                            // 000000003EE8: C0020CC0 000001E0
	s_load_dword s90, s[0:1], 0x1f0                            // 000000003EF0: C0021680 000001F0
	s_load_dword s91, s[0:1], 0x200                            // 000000003EF8: C00216C0 00000200
	s_load_dword s92, s[0:1], 0x210                            // 000000003F00: C0021700 00000210
	s_load_dword s93, s[0:1], 0x220                            // 000000003F08: C0021740 00000220
	s_load_dword s53, s[0:1], 0x230                            // 000000003F10: C0020D40 00000230
	s_load_dword s97, s[0:1], 0x2a0                            // 000000003F18: C0021840 000002A0
	s_load_dword s98, s[0:1], 0x2b0                            // 000000003F20: C0021880 000002B0
	v_lshrrev_b32_e32 v1, 10, v0                               // 000000003F28: 2002008A
	v_lshrrev_b32_e32 v2, 10, v1                               // 000000003F2C: 2004028A
	v_and_b32_e32 v2, 0x3ff, v2                                // 000000003F30: 260404FF 000003FF
	v_and_b32_e32 v1, 0x3ff, v1                                // 000000003F38: 260202FF 000003FF
	v_and_b32_e32 v0, 0x3ff, v0                                // 000000003F40: 260000FF 000003FF
	v_lshrrev_b32_e32 v3, 6, v0                                // 000000003F48: 20060086
	v_and_b32_e32 v0, 63, v0                                   // 000000003F4C: 260000BF
	s_mov_b32 s2, s2                                           // 000000003F50: BE820002
	s_mov_b32 s3, s3                                           // 000000003F54: BE830003
	s_mov_b32 s4, s4                                           // 000000003F58: BE840004
	v_readfirstlane_b32 s46, v3                                // 000000003F5C: 7E5C0503
	s_waitcnt lgkmcnt(0)                                       // 000000003F60: BF8CC07F
	s_mov_b32 s11, 0x20000                                     // 000000003F64: BE8B00FF 00020000
	s_mov_b32 s15, 0x20000                                     // 000000003F6C: BE8F00FF 00020000
	s_mov_b32 s19, 0x20000                                     // 000000003F74: BE9300FF 00020000
	s_mov_b32 s23, 0x20000                                     // 000000003F7C: BE9700FF 00020000
	s_mov_b32 s27, 0x20000                                     // 000000003F84: BE9B00FF 00020000
	s_mov_b32 s31, 0x20000                                     // 000000003F8C: BE9F00FF 00020000
	s_mov_b32 s35, 0x20000                                     // 000000003F94: BEA300FF 00020000
	s_mov_b32 s39, 0x20000                                     // 000000003F9C: BEA700FF 00020000
	s_mov_b32 s43, 0x20000                                     // 000000003FA4: BEAB00FF 00020000
	s_and_b32 s9, s9, 0xffff                                   // 000000003FAC: 8609FF09 0000FFFF
	s_and_b32 s13, s13, 0xffff                                 // 000000003FB4: 860DFF0D 0000FFFF
	s_and_b32 s17, s17, 0xffff                                 // 000000003FBC: 8611FF11 0000FFFF
	s_and_b32 s21, s21, 0xffff                                 // 000000003FC4: 8615FF15 0000FFFF
	s_and_b32 s25, s25, 0xffff                                 // 000000003FCC: 8619FF19 0000FFFF
	s_and_b32 s29, s29, 0xffff                                 // 000000003FD4: 861DFF1D 0000FFFF
	s_and_b32 s33, s33, 0xffff                                 // 000000003FDC: 8621FF21 0000FFFF
	s_and_b32 s37, s37, 0xffff                                 // 000000003FE4: 8625FF25 0000FFFF
	s_and_b32 s41, s41, 0xffff                                 // 000000003FEC: 8629FF29 0000FFFF
	s_or_b32 s9, s9, 0x40000                                   // 000000003FF4: 8709FF09 00040000
	s_or_b32 s13, s13, 0x40000                                 // 000000003FFC: 870DFF0D 00040000
	s_or_b32 s17, s17, 0x40000                                 // 000000004004: 8711FF11 00040000
	s_or_b32 s21, s21, 0x40000                                 // 00000000400C: 8715FF15 00040000
	s_or_b32 s25, s25, 0x40000                                 // 000000004014: 8719FF19 00040000
	s_or_b32 s29, s29, 0x40000                                 // 00000000401C: 871DFF1D 00040000
	s_or_b32 s33, s33, 0x40000                                 // 000000004024: 8721FF21 00040000
	s_or_b32 s37, s37, 0x40000                                 // 00000000402C: 8725FF25 00040000
	s_or_b32 s41, s41, 0x40000                                 // 000000004034: 8729FF29 00040000
	v_accvgpr_write_b32 a255, 0                                // 00000000403C: D3D940FF 18000080
	v_mov_b32_e32 v251, 0                                      // 000000004044: 7FF60280
	s_mov_b32 s76, s8                                          // 000000004048: BECC0008
	s_mov_b32 s78, s12                                         // 00000000404C: BECE000C
	s_mov_b32 s80, s16                                         // 000000004050: BED00010
	s_mov_b32 s82, s20                                         // 000000004054: BED20014
	s_mov_b32 s77, s9                                          // 000000004058: BECD0009
	s_mov_b32 s79, s13                                         // 00000000405C: BECF000D
	s_mov_b32 s81, s17                                         // 000000004060: BED10011
	s_mov_b32 s83, s21                                         // 000000004064: BED30015
	s_mov_b32 s71, s3                                          // 000000004068: BEC70003
	v_cvt_f32_u32_e32 v28, s44                                 // 00000000406C: 7E380C2C
	s_sub_i32 s60, 0, s44                                      // 000000004070: 81BC2C80
	v_rcp_iflag_f32_e32 v28, v28                               // 000000004074: 7E38471C
	s_nop 0                                                    // 000000004078: BF800000
	v_mul_f32_e32 v28, 0x4f7ffffe, v28                         // 00000000407C: 0A3838FF 4F7FFFFE
	v_cvt_u32_f32_e32 v28, v28                                 // 000000004084: 7E380F1C
	v_mul_lo_u32 v29, s60, v28                                 // 000000004088: D285001D 0002383C
	v_mul_hi_u32 v29, v28, v29                                 // 000000004090: D286001D 00023B1C
	v_add_u32_e32 v28, v28, v29                                // 000000004098: 68383B1C
	v_mul_hi_u32 v28, s71, v28                                 // 00000000409C: D286001C 00023847
	v_mul_lo_u32 v29, v28, s44                                 // 0000000040A4: D285001D 0000591C
	v_sub_u32_e32 v31, s71, v29                                // 0000000040AC: 6A3E3A47
	v_add_u32_e32 v30, 1, v28                                  // 0000000040B0: 683C3881
	v_cmp_le_u32_e32 vcc, s44, v31                             // 0000000040B4: 7D963E2C
	v_subrev_u32_e32 v29, s44, v31                             // 0000000040B8: 6C3A3E2C
	s_nop 0                                                    // 0000000040BC: BF800000
	v_cndmask_b32_e32 v28, v28, v30, vcc                       // 0000000040C0: 00383D1C
	v_cndmask_b32_e32 v31, v31, v29, vcc                       // 0000000040C4: 003E3B1F
	v_add_u32_e32 v29, 1, v28                                  // 0000000040C8: 683A3881
	v_cmp_le_u32_e32 vcc, s44, v31                             // 0000000040CC: 7D963E2C
	s_nop 1                                                    // 0000000040D0: BF800001
	v_cndmask_b32_e32 v31, v28, v29, vcc                       // 0000000040D4: 003E3B1C
	s_nop 3                                                    // 0000000040D8: BF800003
	v_readfirstlane_b32 s45, v31                               // 0000000040DC: 7E5A051F
	s_nop 3                                                    // 0000000040E0: BF800003
	v_mov_b32_e32 v28, s47                                     // 0000000040E4: 7E38022F
	v_mul_f32_e32 v28, s48, v28                                // 0000000040E8: 0A383830
	s_mov_b32 s66, 0                                           // 0000000040EC: BEC20080
	s_mov_b32 s58, s49                                         // 0000000040F0: BEBA0031
	s_mov_b32 s59, 0                                           // 0000000040F4: BEBB0080
	v_mov_b32_e32 v151, 0xff800000                             // 0000000040F8: 7F2E02FF FF800000
	s_mov_b32 s63, 0x5040100                                   // 000000004100: BEBF00FF 05040100
	s_mov_b32 s64, 0x7060302                                   // 000000004108: BEC000FF 07060302
	v_readfirstlane_b32 s57, v28                               // 000000004110: 7E72051C
	v_mov_b32_e32 v30, 0x3020706                               // 000000004114: 7E3C02FF 03020706
	v_mov_b32_e32 v28, s63                                     // 00000000411C: 7E38023F
	v_and_b32_e32 v29, 1, v0                                   // 000000004120: 263A0081
	v_cmp_eq_u32_e32 vcc, 1, v29                               // 000000004124: 7D943A81
	s_mul_i32 s60, s94, 64                                     // 000000004128: 923CC05E
	s_mov_b32 s67, s60                                         // 00000000412C: BEC3003C
	v_cndmask_b32_e32 v15, v28, v30, vcc                       // 000000004130: 001E3D1C
	s_mul_i32 s68, 4, s5                                       // 000000004134: 92440584
	s_mul_i32 s95, 4, s51                                      // 000000004138: 925F3384
	s_mov_b32 s69, 16                                          // 00000000413C: BEC50090
	s_mul_i32 s60, s6, 0xc0                                    // 000000004140: 923CFF06 000000C0
	s_mul_i32 s60, s2, s60                                     // 000000004148: 923C3C02
	s_mul_i32 s61, s45, s84                                    // 00000000414C: 923D542D
	s_mul_i32 s62, s4, s85                                     // 000000004150: 923E5504
	s_add_u32 s54, s60, s61                                    // 000000004154: 80363D3C
	s_add_u32 s54, s54, s62                                    // 000000004158: 80363E36
	s_mul_i32 s60, s2, 0xc0                                    // 00000000415C: 923CFF02 000000C0
	s_sub_i32 s60, s50, s60                                    // 000000004164: 81BC3C32
	s_mul_i32 s60, s6, s60                                     // 000000004168: 923C3C06
	s_lshr_b32 s60, s60, 2                                     // 00000000416C: 8F3C823C
	s_mov_b32 s14, s60                                         // 000000004170: BE8E003C
	s_add_u32 s12, s54, s78                                    // 000000004174: 800C4E36
	s_addc_u32 s13, 0, s79                                     // 000000004178: 820D4F80
	s_mul_i32 s60, s7, 0xc0                                    // 00000000417C: 923CFF07 000000C0
	s_mul_i32 s60, s2, s60                                     // 000000004184: 923C3C02
	s_mul_i32 s61, s45, s86                                    // 000000004188: 923D562D
	s_mul_i32 s62, s4, s87                                     // 00000000418C: 923E5704
	s_add_u32 s54, s60, s61                                    // 000000004190: 80363D3C
	s_add_u32 s54, s54, s62                                    // 000000004194: 80363E36
	s_mul_i32 s60, s2, 0xc0                                    // 000000004198: 923CFF02 000000C0
	s_sub_i32 s60, s50, s60                                    // 0000000041A0: 81BC3C32
	s_mul_i32 s60, s7, s60                                     // 0000000041A4: 923C3C07
	s_lshr_b32 s60, s60, 2                                     // 0000000041A8: 8F3C823C
	s_mov_b32 s18, s60                                         // 0000000041AC: BE92003C
	s_add_u32 s16, s54, s80                                    // 0000000041B0: 80105036
	s_addc_u32 s17, 0, s81                                     // 0000000041B4: 82115180
	s_mul_i32 s80, s2, 0xc0                                    // 0000000041B8: 9250FF02 000000C0
	s_sub_i32 s61, s80, s97                                    // 0000000041C0: 81BD6150
	s_cmp_ge_i32 s61, 0                                        // 0000000041C4: BF03803D
	s_cselect_b32 s61, s61, 0                                  // 0000000041C8: 853D803D
	s_cmp_lt_i32 s61, s49                                      // 0000000041CC: BF04313D
	s_cselect_b32 s61, s61, s49                                // 0000000041D0: 853D313D
	s_and_b32 s59, s61, -16                                    // 0000000041D4: 863BD03D
	s_add_i32 s60, s80, 0xc0                                   // 0000000041D8: 813CFF50 000000C0
	s_add_i32 s61, s60, s98                                    // 0000000041E0: 813D623C
	s_cmp_ge_i32 s61, 0                                        // 0000000041E4: BF03803D
	s_cselect_b32 s61, s61, 0                                  // 0000000041E8: 853D803D
	s_cmp_lt_i32 s61, s49                                      // 0000000041EC: BF04313D
	s_cselect_b32 s61, s61, s49                                // 0000000041F0: 853D313D
	s_mov_b32 s58, s61                                         // 0000000041F4: BEBA003D
	s_add_u32 s99, 16, s59                                     // 0000000041F8: 80633B90
	s_mul_i32 s61, s3, s74                                     // 0000000041FC: 923D4A03
	s_mul_i32 s62, s4, s75                                     // 000000004200: 923E4B04
	s_add_u32 s55, s61, s62                                    // 000000004204: 80373E3D
	s_mul_i32 s60, s5, s59                                     // 000000004208: 923C3B05
	s_add_u32 s55, s60, s55                                    // 00000000420C: 8037373C
	s_sub_i32 s60, s58, s59                                    // 000000004210: 81BC3B3A
	s_mul_i32 s61, s5, s60                                     // 000000004214: 923D3C05
	s_lshr_b32 s61, s61, 2                                     // 000000004218: 8F3D823D
	s_mov_b32 s10, s61                                         // 00000000421C: BE8A003D
	s_add_u32 s8, s55, s76                                     // 000000004220: 80084C37
	s_addc_u32 s9, 0, s77                                      // 000000004224: 82094D80
	s_mul_i32 s61, s3, s88                                     // 000000004228: 923D5803
	s_mul_i32 s62, s4, s89                                     // 00000000422C: 923E5904
	s_add_u32 s56, s61, s62                                    // 000000004230: 80383E3D
	s_mul_i32 s61, s51, s59                                    // 000000004234: 923D3B33
	s_add_u32 s56, s61, s56                                    // 000000004238: 8038383D
	s_mul_i32 s61, s51, s60                                    // 00000000423C: 923D3C33
	s_lshr_b32 s61, s61, 2                                     // 000000004240: 8F3D823D
	s_mov_b32 s22, s61                                         // 000000004244: BE96003D
	s_add_u32 s20, s56, s82                                    // 000000004248: 80145238
	s_addc_u32 s21, 0, s83                                     // 00000000424C: 82155380
	s_mul_i32 s62, s4, s96                                     // 000000004250: 923E6004
	s_mul_i32 s62, s62, s49                                    // 000000004254: 923E313E
	s_lshl_b32 s62, s62, 2                                     // 000000004258: 8E3E823E
	s_mul_i32 s61, s3, s49                                     // 00000000425C: 923D3103
	s_mul_i32 s61, 4, s61                                      // 000000004260: 923D3D84
	s_add_u32 s65, s61, s62                                    // 000000004264: 80413E3D
	s_mul_i32 s60, 4, s58                                      // 000000004268: 923C3A84
	s_add_u32 s60, s60, s61                                    // 00000000426C: 803C3D3C
	s_add_u32 s60, s60, s62                                    // 000000004270: 803C3E3C
	s_lshr_b32 s60, s60, 2                                     // 000000004274: 8F3C823C
	s_add_u32 s24, s65, s24                                    // 000000004278: 80181841
	s_addc_u32 s25, 0, s25                                     // 00000000427C: 82191980
	s_add_u32 s28, s65, s28                                    // 000000004280: 801C1C41
	s_addc_u32 s29, 0, s29                                     // 000000004284: 821D1D80
	s_mov_b32 s26, s60                                         // 000000004288: BE9A003C
	s_mov_b32 s30, s60                                         // 00000000428C: BE9E003C
	s_cmp_lt_u32 s46, 2                                        // 000000004290: BF0A822E
	s_cselect_b32 s24, s24, s28                                // 000000004294: 85181C18
	s_cselect_b32 s25, s25, s29                                // 000000004298: 85191D19
	s_cselect_b32 s26, s26, s30                                // 00000000429C: 851A1E1A
	s_cselect_b32 s27, s27, s31                                // 0000000042A0: 851B1F1B
	s_mov_b32 s71, s6                                          // 0000000042A4: BEC70006
	v_lshrrev_b32_e32 v28, 4, v0                               // 0000000042A8: 20380084
	v_and_b32_e32 v29, 1, v28                                  // 0000000042AC: 263A3881
	v_lshlrev_b32_e32 v29, 1, v29                              // 0000000042B0: 243A3A81
	v_mul_i32_i24_e32 v29, s71, v29                            // 0000000042B4: 0C3A3A47
	v_and_b32_e32 v30, 2, v28                                  // 0000000042B8: 263C3882
	v_lshlrev_b32_e32 v30, 5, v30                              // 0000000042BC: 243C3C85
	v_add_u32_e32 v29, v30, v29                                // 0000000042C0: 683A3B1E
	v_and_b32_e32 v28, 15, v0                                  // 0000000042C4: 2638008F
	v_lshlrev_b32_e32 v28, 2, v28                              // 0000000042C8: 24383882
	v_add_u32_e32 v1, v28, v29                                 // 0000000042CC: 68023B1C
	s_and_b32 s60, 1, s46                                      // 0000000042D0: 863C2E81
	s_mul_i32 s60, s60, s71                                    // 0000000042D4: 923C473C
	s_mul_i32 s60, s60, 8                                      // 0000000042D8: 923C883C
	s_lshr_b32 s61, s46, 1                                     // 0000000042DC: 8F3D812E
	s_mul_i32 s61, s61, 0x80                                   // 0000000042E0: 923DFF3D 00000080
	s_add_u32 s60, s60, s61                                    // 0000000042E8: 803C3D3C
	v_add_u32_e32 v1, s60, v1                                  // 0000000042EC: 6802023C
	v_add_u32_e32 v2, s71, v1                                  // 0000000042F0: 68040247
	s_mul_i32 s60, 4, s71                                      // 0000000042F4: 923C4784
	v_add_u32_e32 v3, s60, v1                                  // 0000000042F8: 6806023C
	v_add_u32_e32 v4, s60, v2                                  // 0000000042FC: 6808043C
	s_mov_b32 s71, s7                                          // 000000004300: BEC70007
	v_lshrrev_b32_e32 v28, 4, v0                               // 000000004304: 20380084
	v_and_b32_e32 v29, 1, v28                                  // 000000004308: 263A3881
	v_lshlrev_b32_e32 v29, 1, v29                              // 00000000430C: 243A3A81
	v_mul_i32_i24_e32 v29, s71, v29                            // 000000004310: 0C3A3A47
	v_and_b32_e32 v30, 2, v28                                  // 000000004314: 263C3882
	v_lshlrev_b32_e32 v30, 5, v30                              // 000000004318: 243C3C85
	v_add_u32_e32 v29, v30, v29                                // 00000000431C: 683A3B1E
	v_and_b32_e32 v28, 15, v0                                  // 000000004320: 2638008F
	v_lshlrev_b32_e32 v28, 2, v28                              // 000000004324: 24383882
	v_add_u32_e32 v248, v28, v29                               // 000000004328: 69F03B1C
	s_and_b32 s60, 1, s46                                      // 00000000432C: 863C2E81
	s_mul_i32 s60, s60, s71                                    // 000000004330: 923C473C
	s_mul_i32 s60, s60, 8                                      // 000000004334: 923C883C
	s_lshr_b32 s61, s46, 1                                     // 000000004338: 8F3D812E
	s_mul_i32 s61, s61, 0x80                                   // 00000000433C: 923DFF3D 00000080
	s_add_u32 s60, s60, s61                                    // 000000004344: 803C3D3C
	v_add_u32_e32 v248, s60, v248                              // 000000004348: 69F1F03C
	v_add_u32_e32 v249, s71, v248                              // 00000000434C: 69F3F047
	s_mul_i32 s60, 4, s71                                      // 000000004350: 923C4784
	v_add_u32_e32 v250, s60, v248                              // 000000004354: 69F5F03C
	v_add_u32_e32 v251, s60, v249                              // 000000004358: 69F7F23C
	v_lshrrev_b32_e32 v1, 2, v1                                // 00000000435C: 20020282
	v_lshrrev_b32_e32 v2, 2, v2                                // 000000004360: 20040482
	v_lshrrev_b32_e32 v3, 2, v3                                // 000000004364: 20060682
	v_lshrrev_b32_e32 v4, 2, v4                                // 000000004368: 20080882
	v_lshrrev_b32_e32 v248, 2, v248                            // 00000000436C: 21F1F082
	v_lshrrev_b32_e32 v249, 2, v249                            // 000000004370: 21F3F282
	v_lshrrev_b32_e32 v250, 2, v250                            // 000000004374: 21F5F482
	v_lshrrev_b32_e32 v251, 2, v251                            // 000000004378: 21F7F682
	s_mul_i32 s60, 4, s59                                      // 00000000437C: 923C3B84
	v_and_b32_e32 v9, 15, v0                                   // 000000004380: 2612008F
	v_lshlrev_b32_e32 v9, 2, v9                                // 000000004384: 24121282
	v_add_u32_e32 v9, s60, v9                                  // 000000004388: 6812123C
	v_lshrrev_b32_e32 v9, 2, v9                                // 00000000438C: 20121282
	s_mov_b32 s70, s52                                         // 000000004390: BEC60034
	v_lshrrev_b32_e32 v28, 4, v0                               // 000000004394: 20380084
	v_mul_i32_i24_e32 v5, s70, v28                             // 000000004398: 0C0A3846
	v_lshrrev_b32_e32 v5, 2, v5                                // 00000000439C: 200A0A82
	v_and_b32_e32 v28, 15, v0                                  // 0000000043A0: 2638008F
	v_lshlrev_b32_e32 v29, 2, v28                              // 0000000043A4: 243A3882
	v_add_u32_e32 v5, v29, v5                                  // 0000000043A8: 680A0B1D
	s_mul_i32 s60, 16, s70                                     // 0000000043AC: 923C4690
	s_mul_i32 s60, s46, s60                                    // 0000000043B0: 923C3C2E
	v_lshlrev_b32_e32 v5, 2, v5                                // 0000000043B4: 240A0A82
	v_add_u32_e32 v5, s60, v5                                  // 0000000043B8: 680A0A3C
	s_mul_i32 s60, 0xc0, s52                                   // 0000000043BC: 923C34FF 000000C0
	s_mul_i32 s60, s2, s60                                     // 0000000043C4: 923C3C02
	s_mul_i32 s61, s3, s90                                     // 0000000043C8: 923D5A03
	s_mul_i32 s62, s4, s91                                     // 0000000043CC: 923E5B04
	s_add_u32 s60, s60, s61                                    // 0000000043D0: 803C3D3C
	s_add_u32 s60, s60, s62                                    // 0000000043D4: 803C3E3C
	v_add_u32_e32 v5, s60, v5                                  // 0000000043D8: 680A0A3C
	v_lshrrev_b32_e32 v5, 2, v5                                // 0000000043DC: 200A0A82
	s_mul_i32 s60, s50, s52                                    // 0000000043E0: 923C3432
	s_add_u32 s60, s60, s61                                    // 0000000043E4: 803C3D3C
	s_add_u32 s60, s60, s62                                    // 0000000043E8: 803C3E3C
	s_lshr_b32 s60, s60, 2                                     // 0000000043EC: 8F3C823C
	s_mov_b32 s38, s60                                         // 0000000043F0: BEA6003C
	s_mov_b32 s70, s53                                         // 0000000043F4: BEC60035
	v_lshrrev_b32_e32 v28, 4, v0                               // 0000000043F8: 20380084
	v_mul_i32_i24_e32 v6, s70, v28                             // 0000000043FC: 0C0C3846
	v_lshrrev_b32_e32 v6, 2, v6                                // 000000004400: 200C0C82
	v_and_b32_e32 v28, 15, v0                                  // 000000004404: 2638008F
	v_lshlrev_b32_e32 v29, 2, v28                              // 000000004408: 243A3882
	v_add_u32_e32 v6, v29, v6                                  // 00000000440C: 680C0D1D
	s_mul_i32 s60, 16, s70                                     // 000000004410: 923C4690
	s_mul_i32 s60, s46, s60                                    // 000000004414: 923C3C2E
	v_lshlrev_b32_e32 v6, 2, v6                                // 000000004418: 240C0C82
	v_add_u32_e32 v6, s60, v6                                  // 00000000441C: 680C0C3C
	s_mul_i32 s60, 0xc0, s53                                   // 000000004420: 923C35FF 000000C0
	s_mul_i32 s60, s2, s60                                     // 000000004428: 923C3C02
	s_mul_i32 s61, s3, s92                                     // 00000000442C: 923D5C03
	s_mul_i32 s62, s4, s93                                     // 000000004430: 923E5D04
	s_add_u32 s60, s60, s61                                    // 000000004434: 803C3D3C
	s_add_u32 s60, s60, s62                                    // 000000004438: 803C3E3C
	v_add_u32_e32 v6, s60, v6                                  // 00000000443C: 680C0C3C
	v_lshrrev_b32_e32 v6, 2, v6                                // 000000004440: 200C0C82
	s_mul_i32 s60, s50, s53                                    // 000000004444: 923C3532
	s_add_u32 s60, s60, s61                                    // 000000004448: 803C3D3C
	s_add_u32 s60, s60, s62                                    // 00000000444C: 803C3E3C
	s_lshr_b32 s60, s60, 2                                     // 000000004450: 8F3C823C
	s_mov_b32 s42, s60                                         // 000000004454: BEAA003C
	v_lshrrev_b32_e32 v28, 5, v0                               // 000000004458: 20380085
	v_mul_i32_i24_e64 v29, s94, 2                              // 00000000445C: D106001D 0001045E
	v_mul_i32_i24_e32 v7, v29, v28                             // 000000004464: 0C0E391D
	v_and_b32_e32 v28, 31, v0                                  // 000000004468: 2638009F
	v_add_u32_e32 v7, v28, v7                                  // 00000000446C: 680E0F1C
	s_mul_i32 s60, 4, s94                                      // 000000004470: 923C5E84
	s_mul_i32 s60, s46, s60                                    // 000000004474: 923C3C2E
	v_add_u32_e32 v7, s60, v7                                  // 000000004478: 680E0E3C
	v_lshlrev_b32_e32 v7, 2, v7                                // 00000000447C: 240E0E82
	v_mul_i32_i24_e32 v29, 2, v29                              // 000000004480: 0C3A3A82
	v_add_u32_e32 v8, v29, v7                                  // 000000004484: 68100F1D
	s_mul_i32 s60, 4, s59                                      // 000000004488: 923C3B84
	s_add_u32 s60, s65, s60                                    // 00000000448C: 803C3C41
	s_mul_i32 s72, s94, s60                                    // 000000004490: 92483C5E
	s_add_u32 s32, s72, s32                                    // 000000004494: 80202048
	s_addc_u32 s33, 0, s33                                     // 000000004498: 82212180
	s_sub_i32 s60, s58, s59                                    // 00000000449C: 81BC3B3A
	s_mul_i32 s60, s94, s60                                    // 0000000044A0: 923C3C5E
	s_lshl_b32 s60, s60, 2                                     // 0000000044A4: 8E3C823C
	s_mov_b32 s34, s60                                         // 0000000044A8: BEA2003C
	s_mul_i32 s60, 3, s2                                       // 0000000044AC: 923C0283
	s_add_u32 s61, s50, 63                                     // 0000000044B0: 803DBF32
	s_lshr_b32 s61, s61, 6                                     // 0000000044B4: 8F3D863D
	s_sub_i32 s73, s61, s60                                    // 0000000044B8: 81C93C3D
	s_cmp_lt_i32 s73, 3                                        // 0000000044BC: BF048349
	s_cselect_b32 s73, s73, 3                                  // 0000000044C0: 85498349
	s_lshr_b32 s60, s46, 1                                     // 0000000044C4: 8F3C812E
	s_lshl_b32 s60, s60, 8                                     // 0000000044C8: 8E3C883C
	s_add_u32 s74, 0xc600, s60                                 // 0000000044CC: 804A3CFF 0000C600
	s_add_u32 s75, 0x200, s74                                  // 0000000044D4: 804B4AFF 00000200
	s_mov_b32 m0, s74                                          // 0000000044DC: BEFC004A
	v_lshrrev_b32_e32 v28, 2, v0                               // 0000000044E0: 20380082
	v_and_b32_e32 v29, 3, v28                                  // 0000000044E4: 263A3883
	v_lshrrev_b32_e32 v30, 3, v28                              // 0000000044E8: 203C3883
	v_lshlrev_b32_e32 v30, 2, v30                              // 0000000044EC: 243C3C82
	v_add_u32_e32 v28, v30, v29                                // 0000000044F0: 68383B1E
	s_lshr_b32 s60, s46, 1                                     // 0000000044F4: 8F3C812E
	s_sub_i32 s60, 1, s60                                      // 0000000044F8: 81BC3C81
	v_mul_i32_i24_e64 v29, s60, 8                              // 0000000044FC: D106001D 0001103C
	v_mov_b32_e32 v30, s94                                     // 000000004504: 7E3C025E
	v_sub_u32_e64 v30, v30, 64                                 // 000000004508: D135001E 0001811E
	v_lshrrev_b32_e32 v30, 3, v30                              // 000000004510: 203C3C83
	v_add_u32_e32 v29, v30, v29                                // 000000004514: 683A3B1E
	v_cmp_lt_u32_e64 s[86:87], v28, v29                        // 000000004518: D0C90056 00023B1C
	s_mov_b32 s84, -1                                          // 000000004520: BED400C1
	s_mov_b32 s85, -1                                          // 000000004524: BED500C1
	v_and_b32_e32 v28, 15, v0                                  // 000000004528: 2638008F
	v_mov_b32_e32 v29, s94                                     // 00000000452C: 7E3A025E
	v_lshrrev_b32_e32 v29, 3, v29                              // 000000004530: 203A3A83
	v_cmp_lt_u32_e64 s[88:89], v28, v29                        // 000000004534: D0C90058 00023B1C
	s_sub_i32 s100, s50, s80                                   // 00000000453C: 81E45032
	v_and_b32_e32 v28, 31, v0                                  // 000000004540: 2638009F
	v_lshrrev_b32_e32 v28, 1, v28                              // 000000004544: 20383881
	v_and_b32_e32 v29, 1, v28                                  // 000000004548: 263A3881
	v_lshlrev_b32_e32 v29, 4, v29                              // 00000000454C: 243A3A84
	v_and_b32_e32 v30, 2, v28                                  // 000000004550: 263C3882
	v_lshlrev_b32_e32 v30, 2, v30                              // 000000004554: 243C3C82
	v_add_u32_e32 v29, v30, v29                                // 000000004558: 683A3B1E
	v_and_b32_e32 v30, 12, v28                                 // 00000000455C: 263C388C
	v_lshrrev_b32_e32 v30, 1, v30                              // 000000004560: 203C3C81
	v_add_u32_e32 v29, v30, v29                                // 000000004564: 683A3B1E
	v_lshrrev_b32_e32 v28, 5, v0                               // 000000004568: 20380085
	v_mul_i32_i24_e32 v30, 0x80, v28                           // 00000000456C: 0C3C38FF 00000080
	v_add_u32_e32 v29, v30, v29                                // 000000004574: 683A3B1E
	v_and_b32_e32 v30, 1, v0                                   // 000000004578: 263C0081
	v_add_u32_e32 v11, v30, v29                                // 00000000457C: 68163B1E
	s_and_b32 s60, 1, s46                                      // 000000004580: 863C2E81
	s_mul_i32 s60, s60, 64                                     // 000000004584: 923CC03C
	s_lshr_b32 s61, s46, 1                                     // 000000004588: 8F3D812E
	s_mul_i32 s61, s61, 0x220                                  // 00000000458C: 923DFF3D 00000220
	s_add_u32 s60, s60, s61                                    // 000000004594: 803C3D3C
	v_add_u32_e32 v11, s60, v11                                // 000000004598: 6816163C
	v_lshlrev_b32_e32 v11, 2, v11                              // 00000000459C: 24161682
	v_lshrrev_b32_e32 v28, 4, v0                               // 0000000045A0: 20380084
	v_and_b32_e32 v29, 1, v28                                  // 0000000045A4: 263A3881
	v_lshlrev_b32_e32 v29, 4, v29                              // 0000000045A8: 243A3A84
	v_and_b32_e32 v30, 2, v28                                  // 0000000045AC: 263C3882
	v_mul_i32_i24_e32 v30, 4, v30                              // 0000000045B0: 0C3C3C84
	v_add_u32_e32 v29, v30, v29                                // 0000000045B4: 683A3B1E
	v_and_b32_e32 v28, 15, v0                                  // 0000000045B8: 2638008F
	v_lshrrev_b32_e32 v30, 2, v28                              // 0000000045BC: 203C3882
	v_lshlrev_b32_e32 v30, 5, v30                              // 0000000045C0: 243C3C85
	v_add_u32_e32 v29, v30, v29                                // 0000000045C4: 683A3B1E
	v_and_b32_e32 v28, 3, v0                                   // 0000000045C8: 26380083
	v_and_b32_e32 v30, 1, v28                                  // 0000000045CC: 263C3881
	v_mul_i32_i24_e32 v30, 0x108, v30                          // 0000000045D0: 0C3C3CFF 00000108
	v_add_u32_e32 v29, v30, v29                                // 0000000045D8: 683A3B1E
	v_and_b32_e32 v30, 2, v28                                  // 0000000045DC: 263C3882
	v_lshlrev_b32_e32 v30, 1, v30                              // 0000000045E0: 243C3C81
	v_add_u32_e32 v10, v30, v29                                // 0000000045E4: 68143B1E
	v_lshlrev_b32_e32 v10, 2, v10                              // 0000000045E8: 24141482
	s_mul_i32 s60, s46, 0x1100                                 // 0000000045EC: 923CFF2E 00001100
	v_add_u32_e32 v22, s60, v10                                // 0000000045F4: 682C143C
	v_lshrrev_b32_e32 v28, 5, v0                               // 0000000045F8: 20380085
	v_mul_i32_i24_e32 v13, 0x80, v28                           // 0000000045FC: 0C1A38FF 00000080
	v_and_b32_e32 v28, 31, v0                                  // 000000004604: 2638009F
	v_and_b32_e32 v29, 7, v28                                  // 000000004608: 263A3887
	v_and_b32_e32 v30, 1, v29                                  // 00000000460C: 263C3A81
	v_lshlrev_b32_e32 v30, 2, v30                              // 000000004610: 243C3C82
	v_add_u32_e32 v13, v30, v13                                // 000000004614: 681A1B1E
	v_and_b32_e32 v30, 2, v29                                  // 000000004618: 263C3A82
	v_lshlrev_b32_e32 v30, 3, v30                              // 00000000461C: 243C3C83
	v_add_u32_e32 v13, v30, v13                                // 000000004620: 681A1B1E
	v_and_b32_e32 v30, 4, v29                                  // 000000004624: 263C3A84
	v_lshlrev_b32_e32 v30, 1, v30                              // 000000004628: 243C3C81
	v_add_u32_e32 v13, v30, v13                                // 00000000462C: 681A1B1E
	v_lshrrev_b32_e32 v29, 3, v28                              // 000000004630: 203A3883
	v_and_b32_e32 v30, 1, v29                                  // 000000004634: 263C3A81
	v_lshlrev_b32_e32 v30, 1, v30                              // 000000004638: 243C3C81
	v_add_u32_e32 v13, v30, v13                                // 00000000463C: 681A1B1E
	v_and_b32_e32 v30, 2, v29                                  // 000000004640: 263C3A82
	v_lshrrev_b32_e32 v30, 1, v30                              // 000000004644: 203C3C81
	v_add_u32_e32 v13, v30, v13                                // 000000004648: 681A1B1E
	s_and_b32 s60, 1, s46                                      // 00000000464C: 863C2E81
	s_mul_i32 s60, s60, 64                                     // 000000004650: 923CC03C
	s_lshr_b32 s61, s46, 1                                     // 000000004654: 8F3D812E
	s_mul_i32 s61, s61, 0x220                                  // 000000004658: 923DFF3D 00000220
	s_add_u32 s60, s60, s61                                    // 000000004660: 803C3D3C
	v_add_u32_e32 v13, s60, v13                                // 000000004664: 681A1A3C
	v_lshlrev_b32_e32 v13, 2, v13                              // 000000004668: 241A1A82
	v_and_b32_e32 v28, 15, v0                                  // 00000000466C: 2638008F
	v_and_b32_e32 v30, 1, v28                                  // 000000004670: 263C3881
	v_mul_i32_i24_e32 v12, 0x108, v30                          // 000000004674: 0C183CFF 00000108
	v_and_b32_e32 v30, 2, v28                                  // 00000000467C: 263C3882
	v_lshlrev_b32_e32 v30, 1, v30                              // 000000004680: 243C3C81
	v_add_u32_e32 v12, v30, v12                                // 000000004684: 6818191E
	v_and_b32_e32 v30, 4, v28                                  // 000000004688: 263C3884
	v_lshlrev_b32_e32 v30, 2, v30                              // 00000000468C: 243C3C82
	v_add_u32_e32 v12, v30, v12                                // 000000004690: 6818191E
	v_and_b32_e32 v30, 8, v28                                  // 000000004694: 263C3888
	v_add_u32_e32 v12, v30, v12                                // 000000004698: 6818191E
	v_lshrrev_b32_e32 v28, 4, v0                               // 00000000469C: 20380084
	v_and_b32_e32 v30, 1, v28                                  // 0000000046A0: 263C3881
	v_lshlrev_b32_e32 v30, 5, v30                              // 0000000046A4: 243C3C85
	v_add_u32_e32 v12, v30, v12                                // 0000000046A8: 6818191E
	v_and_b32_e32 v29, 2, v28                                  // 0000000046AC: 263A3882
	v_mul_i32_i24_e32 v30, 32, v29                             // 0000000046B0: 0C3C3AA0
	v_mul_i32_i24_e32 v29, 0x220, v29                          // 0000000046B4: 0C3A3AFF 00000220
	v_add_u32_e32 v23, v29, v12                                // 0000000046BC: 682E191D
	v_add_u32_e32 v12, v30, v12                                // 0000000046C0: 6818191E
	v_lshlrev_b32_e32 v12, 2, v12                              // 0000000046C4: 24181882
	v_lshlrev_b32_e32 v23, 2, v23                              // 0000000046C8: 242E2E82
	s_and_b32 s60, 1, s46                                      // 0000000046CC: 863C2E81
	s_mul_i32 s60, s60, 0x200                                  // 0000000046D0: 923CFF3C 00000200
	s_lshr_b32 s61, s46, 1                                     // 0000000046D8: 8F3D812E
	s_mul_i32 s61, s61, 0x880                                  // 0000000046DC: 923DFF3D 00000880
	s_add_u32 s60, s60, s61                                    // 0000000046E4: 803C3D3C
	v_add_u32_e32 v23, s60, v23                                // 0000000046E8: 682E2E3C
	v_lshrrev_b32_e32 v28, 4, v0                               // 0000000046EC: 20380084
	v_mul_i32_i24_e32 v21, 4, v28                              // 0000000046F0: 0C2A3884
	v_and_b32_e32 v29, 3, v0                                   // 0000000046F4: 263A0083
	v_add_u32_e32 v21, v29, v21                                // 0000000046F8: 682A2B1D
	v_lshlrev_b32_e32 v21, 2, v21                              // 0000000046FC: 242A2A82
	v_lshrrev_b32_e32 v28, 4, v0                               // 000000004700: 20380084
	v_and_b32_e32 v29, 1, v28                                  // 000000004704: 263A3881
	v_mul_i32_i24_e32 v19, 0x100, v29                          // 000000004708: 0C263AFF 00000100
	v_and_b32_e32 v29, 2, v28                                  // 000000004710: 263A3882
	v_mul_i32_i24_e32 v29, 64, v29                             // 000000004714: 0C3A3AC0
	v_add_u32_e32 v19, v29, v19                                // 000000004718: 6826271D
	v_and_b32_e32 v28, 15, v0                                  // 00000000471C: 2638008F
	v_mul_i32_i24_e32 v29, 2, v28                              // 000000004720: 0C3A3882
	v_add_u32_e32 v19, v29, v19                                // 000000004724: 6826271D
	s_mul_i32 s60, s46, 32                                     // 000000004728: 923CA02E
	v_add_u32_e32 v19, s60, v19                                // 00000000472C: 6826263C
	v_lshlrev_b32_e32 v19, 2, v19                              // 000000004730: 24262682
	v_lshlrev_b32_e32 v20, 1, v0                               // 000000004734: 24280081
	s_mul_i32 s60, s46, 0x200                                  // 000000004738: 923CFF2E 00000200
	v_add_u32_e32 v20, s60, v20                                // 000000004740: 6828283C
	v_lshlrev_b32_e32 v20, 2, v20                              // 000000004744: 24282882
	v_lshrrev_b32_e32 v28, 5, v0                               // 000000004748: 20380085
	v_mul_i32_i24_e32 v17, 64, v28                             // 00000000474C: 0C2238C0
	v_and_b32_e32 v28, 31, v0                                  // 000000004750: 2638009F
	v_and_b32_e32 v28, 3, v28                                  // 000000004754: 26383883
	v_and_b32_e32 v29, 1, v28                                  // 000000004758: 263A3881
	v_mul_i32_i24_e32 v29, 4, v29                              // 00000000475C: 0C3A3A84
	v_add_u32_e32 v17, v29, v17                                // 000000004760: 6822231D
	v_and_b32_e32 v29, 2, v28                                  // 000000004764: 263A3882
	v_mul_i32_i24_e32 v29, 0x44, v29                           // 000000004768: 0C3A3AFF 00000044
	v_add_u32_e32 v17, v29, v17                                // 000000004770: 6822231D
	v_and_b32_e32 v28, 31, v0                                  // 000000004774: 2638009F
	v_lshrrev_b32_e32 v28, 2, v28                              // 000000004778: 20383882
	v_lshrrev_b32_e32 v30, 2, v28                              // 00000000477C: 203C3882
	v_mul_i32_i24_e32 v29, 16, v30                             // 000000004780: 0C3A3C90
	v_add_u32_e32 v17, v29, v17                                // 000000004784: 6822231D
	v_and_b32_e32 v29, 2, v28                                  // 000000004788: 263A3882
	v_lshlrev_b32_e32 v29, 4, v29                              // 00000000478C: 243A3A84
	v_add_u32_e32 v17, v29, v17                                // 000000004790: 6822231D
	v_and_b32_e32 v29, 1, v28                                  // 000000004794: 263A3881
	v_xor_b32_e32 v29, v30, v29                                // 000000004798: 2A3A3B1E
	v_mul_i32_i24_e32 v29, 8, v29                              // 00000000479C: 0C3A3A88
	v_add_u32_e32 v17, v29, v17                                // 0000000047A0: 6822231D
	v_lshlrev_b32_e32 v17, 2, v17                              // 0000000047A4: 24222282
	v_lshrrev_b32_e32 v28, 5, v0                               // 0000000047A8: 20380085
	v_mul_i32_i24_e32 v18, 32, v28                             // 0000000047AC: 0C2438A0
	v_and_b32_e32 v28, 31, v0                                  // 0000000047B0: 2638009F
	v_and_b32_e32 v28, 3, v28                                  // 0000000047B4: 26383883
	v_and_b32_e32 v29, 1, v28                                  // 0000000047B8: 263A3881
	v_mul_i32_i24_e32 v29, 4, v29                              // 0000000047BC: 0C3A3A84
	v_add_u32_e32 v18, v29, v18                                // 0000000047C0: 6824251D
	v_and_b32_e32 v29, 2, v28                                  // 0000000047C4: 263A3882
	v_lshrrev_b32_e32 v29, 1, v29                              // 0000000047C8: 203A3A81
	v_add_u32_e32 v18, v29, v18                                // 0000000047CC: 6824251D
	v_and_b32_e32 v28, 31, v0                                  // 0000000047D0: 2638009F
	v_lshrrev_b32_e32 v28, 2, v28                              // 0000000047D4: 20383882
	v_and_b32_e32 v30, 1, v28                                  // 0000000047D8: 263C3881
	v_mul_i32_i24_e32 v29, 16, v30                             // 0000000047DC: 0C3A3C90
	v_add_u32_e32 v18, v29, v18                                // 0000000047E0: 6824251D
	v_and_b32_e32 v29, 2, v28                                  // 0000000047E4: 263A3882
	v_add_u32_e32 v18, v29, v18                                // 0000000047E8: 6824251D
	v_lshrrev_b32_e32 v29, 2, v28                              // 0000000047EC: 203A3882
	v_xor_b32_e32 v29, v30, v29                                // 0000000047F0: 2A3A3B1E
	v_mul_i32_i24_e32 v29, 8, v29                              // 0000000047F4: 0C3A3A88
	v_add_u32_e32 v18, v29, v18                                // 0000000047F8: 6824251D
	s_and_b32 s60, 1, s46                                      // 0000000047FC: 863C2E81
	s_mul_i32 s60, s60, 64                                     // 000000004800: 923CC03C
	s_lshr_b32 s61, s46, 1                                     // 000000004804: 8F3D812E
	s_mul_i32 s61, s61, 0x120                                  // 000000004808: 923DFF3D 00000120
	s_add_u32 s60, s60, s61                                    // 000000004810: 803C3D3C
	v_add_u32_e32 v18, s60, v18                                // 000000004814: 6824243C
	v_lshlrev_b32_e32 v18, 2, v18                              // 000000004818: 24242482
	v_mov_b32_e32 v152, 0                                      // 00000000481C: 7F300280
	s_mov_b64 exec, s[86:87]                                   // 000000004820: BEFE0156
	buffer_load_dword v152, v1, s[12:15], 0 idxen              // 000000004824: E0502000 80039801
	s_mov_b64 exec, s[84:85]                                   // 00000000482C: BEFE0154
	v_mov_b32_e32 v153, 0                                      // 000000004830: 7F320280
	s_mov_b64 exec, s[86:87]                                   // 000000004834: BEFE0156
	buffer_load_dword v153, v2, s[12:15], 0 idxen              // 000000004838: E0502000 80039902
	s_mov_b64 exec, s[84:85]                                   // 000000004840: BEFE0154
	v_mov_b32_e32 v154, 0                                      // 000000004844: 7F340280
	s_mov_b64 exec, s[86:87]                                   // 000000004848: BEFE0156
	buffer_load_dword v154, v3, s[12:15], 0 idxen              // 00000000484C: E0502000 80039A03
	s_mov_b64 exec, s[84:85]                                   // 000000004854: BEFE0154
	v_mov_b32_e32 v155, 0                                      // 000000004858: 7F360280
	s_mov_b64 exec, s[86:87]                                   // 00000000485C: BEFE0156
	buffer_load_dword v155, v4, s[12:15], 0 idxen              // 000000004860: E0502000 80039B04
	s_mov_b64 exec, s[84:85]                                   // 000000004868: BEFE0154
	s_mul_i32 s60, 4, s6                                       // 00000000486C: 923C0684
	s_cmp_lt_i32 0, s73                                        // 000000004870: BF044980
	s_cselect_b32 s60, s60, 0                                  // 000000004874: 853C803C
	v_add_u32_e32 v1, s60, v1                                  // 000000004878: 6802023C
	v_add_u32_e32 v2, s60, v2                                  // 00000000487C: 6804043C
	v_add_u32_e32 v3, s60, v3                                  // 000000004880: 6806063C
	v_add_u32_e32 v4, s60, v4                                  // 000000004884: 6808083C
	v_mov_b32_e32 v156, 0                                      // 000000004888: 7F380280
	s_mov_b64 exec, s[86:87]                                   // 00000000488C: BEFE0156
	buffer_load_dword v156, v1, s[12:15], 0 idxen              // 000000004890: E0502000 80039C01
	s_mov_b64 exec, s[84:85]                                   // 000000004898: BEFE0154
	v_mov_b32_e32 v157, 0                                      // 00000000489C: 7F3A0280
	s_mov_b64 exec, s[86:87]                                   // 0000000048A0: BEFE0156
	buffer_load_dword v157, v2, s[12:15], 0 idxen              // 0000000048A4: E0502000 80039D02
	s_mov_b64 exec, s[84:85]                                   // 0000000048AC: BEFE0154
	v_mov_b32_e32 v158, 0                                      // 0000000048B0: 7F3C0280
	s_mov_b64 exec, s[86:87]                                   // 0000000048B4: BEFE0156
	buffer_load_dword v158, v3, s[12:15], 0 idxen              // 0000000048B8: E0502000 80039E03
	s_mov_b64 exec, s[84:85]                                   // 0000000048C0: BEFE0154
	v_mov_b32_e32 v159, 0                                      // 0000000048C4: 7F3E0280
	s_mov_b64 exec, s[86:87]                                   // 0000000048C8: BEFE0156
	buffer_load_dword v159, v4, s[12:15], 0 idxen              // 0000000048CC: E0502000 80039F04
	s_mov_b64 exec, s[84:85]                                   // 0000000048D4: BEFE0154
	s_mul_i32 s60, 4, s6                                       // 0000000048D8: 923C0684
	s_cmp_lt_i32 0, s73                                        // 0000000048DC: BF044980
	s_cselect_b32 s60, s60, 0                                  // 0000000048E0: 853C803C
	v_add_u32_e32 v1, s60, v1                                  // 0000000048E4: 6802023C
	v_add_u32_e32 v2, s60, v2                                  // 0000000048E8: 6804043C
	v_add_u32_e32 v3, s60, v3                                  // 0000000048EC: 6806063C
	v_add_u32_e32 v4, s60, v4                                  // 0000000048F0: 6808083C
	v_mov_b32_e32 v160, 0                                      // 0000000048F4: 7F400280
	s_mov_b64 exec, s[86:87]                                   // 0000000048F8: BEFE0156
	buffer_load_dword v160, v1, s[12:15], 0 idxen              // 0000000048FC: E0502000 8003A001
	s_mov_b64 exec, s[84:85]                                   // 000000004904: BEFE0154
	v_mov_b32_e32 v161, 0                                      // 000000004908: 7F420280
	s_mov_b64 exec, s[86:87]                                   // 00000000490C: BEFE0156
	buffer_load_dword v161, v2, s[12:15], 0 idxen              // 000000004910: E0502000 8003A102
	s_mov_b64 exec, s[84:85]                                   // 000000004918: BEFE0154
	v_mov_b32_e32 v162, 0                                      // 00000000491C: 7F440280
	s_mov_b64 exec, s[86:87]                                   // 000000004920: BEFE0156
	buffer_load_dword v162, v3, s[12:15], 0 idxen              // 000000004924: E0502000 8003A203
	s_mov_b64 exec, s[84:85]                                   // 00000000492C: BEFE0154
	v_mov_b32_e32 v163, 0                                      // 000000004930: 7F460280
	s_mov_b64 exec, s[86:87]                                   // 000000004934: BEFE0156
	buffer_load_dword v163, v4, s[12:15], 0 idxen              // 000000004938: E0502000 8003A304
	s_mov_b64 exec, s[84:85]                                   // 000000004940: BEFE0154
	s_mul_i32 s60, 4, s6                                       // 000000004944: 923C0684
	s_cmp_lt_i32 0, s73                                        // 000000004948: BF044980
	s_cselect_b32 s60, s60, 0                                  // 00000000494C: 853C803C
	v_add_u32_e32 v1, s60, v1                                  // 000000004950: 6802023C
	v_add_u32_e32 v2, s60, v2                                  // 000000004954: 6804043C
	v_add_u32_e32 v3, s60, v3                                  // 000000004958: 6806063C
	v_add_u32_e32 v4, s60, v4                                  // 00000000495C: 6808083C
	v_mov_b32_e32 v164, 0                                      // 000000004960: 7F480280
	s_mov_b64 exec, s[86:87]                                   // 000000004964: BEFE0156
	buffer_load_dword v164, v1, s[12:15], 0 idxen              // 000000004968: E0502000 8003A401
	s_mov_b64 exec, s[84:85]                                   // 000000004970: BEFE0154
	v_mov_b32_e32 v165, 0                                      // 000000004974: 7F4A0280
	s_mov_b64 exec, s[86:87]                                   // 000000004978: BEFE0156
	buffer_load_dword v165, v2, s[12:15], 0 idxen              // 00000000497C: E0502000 8003A502
	s_mov_b64 exec, s[84:85]                                   // 000000004984: BEFE0154
	v_mov_b32_e32 v166, 0                                      // 000000004988: 7F4C0280
	s_mov_b64 exec, s[86:87]                                   // 00000000498C: BEFE0156
	buffer_load_dword v166, v3, s[12:15], 0 idxen              // 000000004990: E0502000 8003A603
	s_mov_b64 exec, s[84:85]                                   // 000000004998: BEFE0154
	v_mov_b32_e32 v167, 0                                      // 00000000499C: 7F4E0280
	s_mov_b64 exec, s[86:87]                                   // 0000000049A0: BEFE0156
	buffer_load_dword v167, v4, s[12:15], 0 idxen              // 0000000049A4: E0502000 8003A704
	s_mov_b64 exec, s[84:85]                                   // 0000000049AC: BEFE0154
	s_mul_i32 s60, 4, s6                                       // 0000000049B0: 923C0684
	s_cmp_lt_i32 1, s73                                        // 0000000049B4: BF044981
	s_cselect_b32 s60, s60, 0                                  // 0000000049B8: 853C803C
	v_add_u32_e32 v1, s60, v1                                  // 0000000049BC: 6802023C
	v_add_u32_e32 v2, s60, v2                                  // 0000000049C0: 6804043C
	v_add_u32_e32 v3, s60, v3                                  // 0000000049C4: 6806063C
	v_add_u32_e32 v4, s60, v4                                  // 0000000049C8: 6808083C
	v_mov_b32_e32 v168, 0                                      // 0000000049CC: 7F500280
	s_mov_b64 exec, s[86:87]                                   // 0000000049D0: BEFE0156
	buffer_load_dword v168, v1, s[12:15], 0 idxen              // 0000000049D4: E0502000 8003A801
	s_mov_b64 exec, s[84:85]                                   // 0000000049DC: BEFE0154
	v_mov_b32_e32 v169, 0                                      // 0000000049E0: 7F520280
	s_mov_b64 exec, s[86:87]                                   // 0000000049E4: BEFE0156
	buffer_load_dword v169, v2, s[12:15], 0 idxen              // 0000000049E8: E0502000 8003A902
	s_mov_b64 exec, s[84:85]                                   // 0000000049F0: BEFE0154
	v_mov_b32_e32 v170, 0                                      // 0000000049F4: 7F540280
	s_mov_b64 exec, s[86:87]                                   // 0000000049F8: BEFE0156
	buffer_load_dword v170, v3, s[12:15], 0 idxen              // 0000000049FC: E0502000 8003AA03
	s_mov_b64 exec, s[84:85]                                   // 000000004A04: BEFE0154
	v_mov_b32_e32 v171, 0                                      // 000000004A08: 7F560280
	s_mov_b64 exec, s[86:87]                                   // 000000004A0C: BEFE0156
	buffer_load_dword v171, v4, s[12:15], 0 idxen              // 000000004A10: E0502000 8003AB04
	s_mov_b64 exec, s[84:85]                                   // 000000004A18: BEFE0154
	s_mul_i32 s60, 4, s6                                       // 000000004A1C: 923C0684
	s_cmp_lt_i32 1, s73                                        // 000000004A20: BF044981
	s_cselect_b32 s60, s60, 0                                  // 000000004A24: 853C803C
	v_add_u32_e32 v1, s60, v1                                  // 000000004A28: 6802023C
	v_add_u32_e32 v2, s60, v2                                  // 000000004A2C: 6804043C
	v_add_u32_e32 v3, s60, v3                                  // 000000004A30: 6806063C
	v_add_u32_e32 v4, s60, v4                                  // 000000004A34: 6808083C
	v_mov_b32_e32 v172, 0                                      // 000000004A38: 7F580280
	s_mov_b64 exec, s[86:87]                                   // 000000004A3C: BEFE0156
	buffer_load_dword v172, v1, s[12:15], 0 idxen              // 000000004A40: E0502000 8003AC01
	s_mov_b64 exec, s[84:85]                                   // 000000004A48: BEFE0154
	v_mov_b32_e32 v173, 0                                      // 000000004A4C: 7F5A0280
	s_mov_b64 exec, s[86:87]                                   // 000000004A50: BEFE0156
	buffer_load_dword v173, v2, s[12:15], 0 idxen              // 000000004A54: E0502000 8003AD02
	s_mov_b64 exec, s[84:85]                                   // 000000004A5C: BEFE0154
	v_mov_b32_e32 v174, 0                                      // 000000004A60: 7F5C0280
	s_mov_b64 exec, s[86:87]                                   // 000000004A64: BEFE0156
	buffer_load_dword v174, v3, s[12:15], 0 idxen              // 000000004A68: E0502000 8003AE03
	s_mov_b64 exec, s[84:85]                                   // 000000004A70: BEFE0154
	v_mov_b32_e32 v175, 0                                      // 000000004A74: 7F5E0280
	s_mov_b64 exec, s[86:87]                                   // 000000004A78: BEFE0156
	buffer_load_dword v175, v4, s[12:15], 0 idxen              // 000000004A7C: E0502000 8003AF04
	s_mov_b64 exec, s[84:85]                                   // 000000004A84: BEFE0154
	s_mul_i32 s60, 4, s6                                       // 000000004A88: 923C0684
	s_cmp_lt_i32 1, s73                                        // 000000004A8C: BF044981
	s_cselect_b32 s60, s60, 0                                  // 000000004A90: 853C803C
	v_add_u32_e32 v1, s60, v1                                  // 000000004A94: 6802023C
	v_add_u32_e32 v2, s60, v2                                  // 000000004A98: 6804043C
	v_add_u32_e32 v3, s60, v3                                  // 000000004A9C: 6806063C
	v_add_u32_e32 v4, s60, v4                                  // 000000004AA0: 6808083C
	v_mov_b32_e32 v176, 0                                      // 000000004AA4: 7F600280
	s_mov_b64 exec, s[86:87]                                   // 000000004AA8: BEFE0156
	buffer_load_dword v176, v1, s[12:15], 0 idxen              // 000000004AAC: E0502000 8003B001
	s_mov_b64 exec, s[84:85]                                   // 000000004AB4: BEFE0154
	v_mov_b32_e32 v177, 0                                      // 000000004AB8: 7F620280
	s_mov_b64 exec, s[86:87]                                   // 000000004ABC: BEFE0156
	buffer_load_dword v177, v2, s[12:15], 0 idxen              // 000000004AC0: E0502000 8003B102
	s_mov_b64 exec, s[84:85]                                   // 000000004AC8: BEFE0154
	v_mov_b32_e32 v178, 0                                      // 000000004ACC: 7F640280
	s_mov_b64 exec, s[86:87]                                   // 000000004AD0: BEFE0156
	buffer_load_dword v178, v3, s[12:15], 0 idxen              // 000000004AD4: E0502000 8003B203
	s_mov_b64 exec, s[84:85]                                   // 000000004ADC: BEFE0154
	v_mov_b32_e32 v179, 0                                      // 000000004AE0: 7F660280
	s_mov_b64 exec, s[86:87]                                   // 000000004AE4: BEFE0156
	buffer_load_dword v179, v4, s[12:15], 0 idxen              // 000000004AE8: E0502000 8003B304
	s_mov_b64 exec, s[84:85]                                   // 000000004AF0: BEFE0154
	s_mul_i32 s60, 4, s6                                       // 000000004AF4: 923C0684
	s_cmp_lt_i32 1, s73                                        // 000000004AF8: BF044981
	s_cselect_b32 s60, s60, 0                                  // 000000004AFC: 853C803C
	v_add_u32_e32 v1, s60, v1                                  // 000000004B00: 6802023C
	v_add_u32_e32 v2, s60, v2                                  // 000000004B04: 6804043C
	v_add_u32_e32 v3, s60, v3                                  // 000000004B08: 6806063C
	v_add_u32_e32 v4, s60, v4                                  // 000000004B0C: 6808083C
	v_mov_b32_e32 v180, 0                                      // 000000004B10: 7F680280
	s_mov_b64 exec, s[86:87]                                   // 000000004B14: BEFE0156
	buffer_load_dword v180, v1, s[12:15], 0 idxen              // 000000004B18: E0502000 8003B401
	s_mov_b64 exec, s[84:85]                                   // 000000004B20: BEFE0154
	v_mov_b32_e32 v181, 0                                      // 000000004B24: 7F6A0280
	s_mov_b64 exec, s[86:87]                                   // 000000004B28: BEFE0156
	buffer_load_dword v181, v2, s[12:15], 0 idxen              // 000000004B2C: E0502000 8003B502
	s_mov_b64 exec, s[84:85]                                   // 000000004B34: BEFE0154
	v_mov_b32_e32 v182, 0                                      // 000000004B38: 7F6C0280
	s_mov_b64 exec, s[86:87]                                   // 000000004B3C: BEFE0156
	buffer_load_dword v182, v3, s[12:15], 0 idxen              // 000000004B40: E0502000 8003B603
	s_mov_b64 exec, s[84:85]                                   // 000000004B48: BEFE0154
	v_mov_b32_e32 v183, 0                                      // 000000004B4C: 7F6E0280
	s_mov_b64 exec, s[86:87]                                   // 000000004B50: BEFE0156
	buffer_load_dword v183, v4, s[12:15], 0 idxen              // 000000004B54: E0502000 8003B704
	s_mov_b64 exec, s[84:85]                                   // 000000004B5C: BEFE0154
	s_mul_i32 s60, 4, s6                                       // 000000004B60: 923C0684
	s_cmp_lt_i32 2, s73                                        // 000000004B64: BF044982
	s_cselect_b32 s60, s60, 0                                  // 000000004B68: 853C803C
	v_add_u32_e32 v1, s60, v1                                  // 000000004B6C: 6802023C
	v_add_u32_e32 v2, s60, v2                                  // 000000004B70: 6804043C
	v_add_u32_e32 v3, s60, v3                                  // 000000004B74: 6806063C
	v_add_u32_e32 v4, s60, v4                                  // 000000004B78: 6808083C
	v_mov_b32_e32 v184, 0                                      // 000000004B7C: 7F700280
	s_mov_b64 exec, s[86:87]                                   // 000000004B80: BEFE0156
	buffer_load_dword v184, v1, s[12:15], 0 idxen              // 000000004B84: E0502000 8003B801
	s_mov_b64 exec, s[84:85]                                   // 000000004B8C: BEFE0154
	v_mov_b32_e32 v185, 0                                      // 000000004B90: 7F720280
	s_mov_b64 exec, s[86:87]                                   // 000000004B94: BEFE0156
	buffer_load_dword v185, v2, s[12:15], 0 idxen              // 000000004B98: E0502000 8003B902
	s_mov_b64 exec, s[84:85]                                   // 000000004BA0: BEFE0154
	v_mov_b32_e32 v186, 0                                      // 000000004BA4: 7F740280
	s_mov_b64 exec, s[86:87]                                   // 000000004BA8: BEFE0156
	buffer_load_dword v186, v3, s[12:15], 0 idxen              // 000000004BAC: E0502000 8003BA03
	s_mov_b64 exec, s[84:85]                                   // 000000004BB4: BEFE0154
	v_mov_b32_e32 v187, 0                                      // 000000004BB8: 7F760280
	s_mov_b64 exec, s[86:87]                                   // 000000004BBC: BEFE0156
	buffer_load_dword v187, v4, s[12:15], 0 idxen              // 000000004BC0: E0502000 8003BB04
	s_mov_b64 exec, s[84:85]                                   // 000000004BC8: BEFE0154
	s_mul_i32 s60, 4, s6                                       // 000000004BCC: 923C0684
	s_cmp_lt_i32 2, s73                                        // 000000004BD0: BF044982
	s_cselect_b32 s60, s60, 0                                  // 000000004BD4: 853C803C
	v_add_u32_e32 v1, s60, v1                                  // 000000004BD8: 6802023C
	v_add_u32_e32 v2, s60, v2                                  // 000000004BDC: 6804043C
	v_add_u32_e32 v3, s60, v3                                  // 000000004BE0: 6806063C
	v_add_u32_e32 v4, s60, v4                                  // 000000004BE4: 6808083C
	v_mov_b32_e32 v188, 0                                      // 000000004BE8: 7F780280
	s_mov_b64 exec, s[86:87]                                   // 000000004BEC: BEFE0156
	buffer_load_dword v188, v1, s[12:15], 0 idxen              // 000000004BF0: E0502000 8003BC01
	s_mov_b64 exec, s[84:85]                                   // 000000004BF8: BEFE0154
	v_mov_b32_e32 v189, 0                                      // 000000004BFC: 7F7A0280
	s_mov_b64 exec, s[86:87]                                   // 000000004C00: BEFE0156
	buffer_load_dword v189, v2, s[12:15], 0 idxen              // 000000004C04: E0502000 8003BD02
	s_mov_b64 exec, s[84:85]                                   // 000000004C0C: BEFE0154
	v_mov_b32_e32 v190, 0                                      // 000000004C10: 7F7C0280
	s_mov_b64 exec, s[86:87]                                   // 000000004C14: BEFE0156
	buffer_load_dword v190, v3, s[12:15], 0 idxen              // 000000004C18: E0502000 8003BE03
	s_mov_b64 exec, s[84:85]                                   // 000000004C20: BEFE0154
	v_mov_b32_e32 v191, 0                                      // 000000004C24: 7F7E0280
	s_mov_b64 exec, s[86:87]                                   // 000000004C28: BEFE0156
	buffer_load_dword v191, v4, s[12:15], 0 idxen              // 000000004C2C: E0502000 8003BF04
	s_mov_b64 exec, s[84:85]                                   // 000000004C34: BEFE0154
	s_mul_i32 s60, 4, s6                                       // 000000004C38: 923C0684
	s_cmp_lt_i32 2, s73                                        // 000000004C3C: BF044982
	s_cselect_b32 s60, s60, 0                                  // 000000004C40: 853C803C
	v_add_u32_e32 v1, s60, v1                                  // 000000004C44: 6802023C
	v_add_u32_e32 v2, s60, v2                                  // 000000004C48: 6804043C
	v_add_u32_e32 v3, s60, v3                                  // 000000004C4C: 6806063C
	v_add_u32_e32 v4, s60, v4                                  // 000000004C50: 6808083C
	v_mov_b32_e32 v192, 0                                      // 000000004C54: 7F800280
	s_mov_b64 exec, s[86:87]                                   // 000000004C58: BEFE0156
	buffer_load_dword v192, v1, s[12:15], 0 idxen              // 000000004C5C: E0502000 8003C001
	s_mov_b64 exec, s[84:85]                                   // 000000004C64: BEFE0154
	v_mov_b32_e32 v193, 0                                      // 000000004C68: 7F820280
	s_mov_b64 exec, s[86:87]                                   // 000000004C6C: BEFE0156
	buffer_load_dword v193, v2, s[12:15], 0 idxen              // 000000004C70: E0502000 8003C102
	s_mov_b64 exec, s[84:85]                                   // 000000004C78: BEFE0154
	v_mov_b32_e32 v194, 0                                      // 000000004C7C: 7F840280
	s_mov_b64 exec, s[86:87]                                   // 000000004C80: BEFE0156
	buffer_load_dword v194, v3, s[12:15], 0 idxen              // 000000004C84: E0502000 8003C203
	s_mov_b64 exec, s[84:85]                                   // 000000004C8C: BEFE0154
	v_mov_b32_e32 v195, 0                                      // 000000004C90: 7F860280
	s_mov_b64 exec, s[86:87]                                   // 000000004C94: BEFE0156
	buffer_load_dword v195, v4, s[12:15], 0 idxen              // 000000004C98: E0502000 8003C304
	s_mov_b64 exec, s[84:85]                                   // 000000004CA0: BEFE0154
	s_mul_i32 s60, 4, s6                                       // 000000004CA4: 923C0684
	s_cmp_lt_i32 2, s73                                        // 000000004CA8: BF044982
	s_cselect_b32 s60, s60, 0                                  // 000000004CAC: 853C803C
	v_add_u32_e32 v1, s60, v1                                  // 000000004CB0: 6802023C
	v_add_u32_e32 v2, s60, v2                                  // 000000004CB4: 6804043C
	v_add_u32_e32 v3, s60, v3                                  // 000000004CB8: 6806063C
	v_add_u32_e32 v4, s60, v4                                  // 000000004CBC: 6808083C
	v_mov_b32_e32 v196, 0                                      // 000000004CC0: 7F880280
	s_mov_b64 exec, s[86:87]                                   // 000000004CC4: BEFE0156
	buffer_load_dword v196, v1, s[12:15], 0 idxen              // 000000004CC8: E0502000 8003C401
	s_mov_b64 exec, s[84:85]                                   // 000000004CD0: BEFE0154
	v_mov_b32_e32 v197, 0                                      // 000000004CD4: 7F8A0280
	s_mov_b64 exec, s[86:87]                                   // 000000004CD8: BEFE0156
	buffer_load_dword v197, v2, s[12:15], 0 idxen              // 000000004CDC: E0502000 8003C502
	s_mov_b64 exec, s[84:85]                                   // 000000004CE4: BEFE0154
	v_mov_b32_e32 v198, 0                                      // 000000004CE8: 7F8C0280
	s_mov_b64 exec, s[86:87]                                   // 000000004CEC: BEFE0156
	buffer_load_dword v198, v3, s[12:15], 0 idxen              // 000000004CF0: E0502000 8003C603
	s_mov_b64 exec, s[84:85]                                   // 000000004CF8: BEFE0154
	v_mov_b32_e32 v199, 0                                      // 000000004CFC: 7F8E0280
	s_mov_b64 exec, s[86:87]                                   // 000000004D00: BEFE0156
	buffer_load_dword v199, v4, s[12:15], 0 idxen              // 000000004D04: E0502000 8003C704
	s_mov_b64 exec, s[84:85]                                   // 000000004D0C: BEFE0154
	s_mul_i32 s60, 4, s6                                       // 000000004D10: 923C0684
	s_cmp_lt_i32 3, s73                                        // 000000004D14: BF044983
	s_cselect_b32 s60, s60, 0                                  // 000000004D18: 853C803C
	v_add_u32_e32 v1, s60, v1                                  // 000000004D1C: 6802023C
	v_add_u32_e32 v2, s60, v2                                  // 000000004D20: 6804043C
	v_add_u32_e32 v3, s60, v3                                  // 000000004D24: 6806063C
	v_add_u32_e32 v4, s60, v4                                  // 000000004D28: 6808083C
	s_waitcnt vmcnt(32) lgkmcnt(0)                             // 000000004D2C: BF8C8070
	s_barrier                                                  // 000000004D30: BF8A0000
	s_cmp_lt_i32 0, s73                                        // 000000004D34: BF044980
	s_cbranch_scc1 label_03DF                                  // 000000004D38: BF850010
	v_mov_b32_e32 v152, 0                                      // 000000004D3C: 7F300280
	v_mov_b32_e32 v153, 0                                      // 000000004D40: 7F320280
	v_mov_b32_e32 v154, 0                                      // 000000004D44: 7F340280
	v_mov_b32_e32 v155, 0                                      // 000000004D48: 7F360280
	v_mov_b32_e32 v156, 0                                      // 000000004D4C: 7F380280
	v_mov_b32_e32 v157, 0                                      // 000000004D50: 7F3A0280
	v_mov_b32_e32 v158, 0                                      // 000000004D54: 7F3C0280
	v_mov_b32_e32 v159, 0                                      // 000000004D58: 7F3E0280
	v_mov_b32_e32 v160, 0                                      // 000000004D5C: 7F400280
	v_mov_b32_e32 v161, 0                                      // 000000004D60: 7F420280
	v_mov_b32_e32 v162, 0                                      // 000000004D64: 7F440280
	v_mov_b32_e32 v163, 0                                      // 000000004D68: 7F460280
	v_mov_b32_e32 v164, 0                                      // 000000004D6C: 7F480280
	v_mov_b32_e32 v165, 0                                      // 000000004D70: 7F4A0280
	v_mov_b32_e32 v166, 0                                      // 000000004D74: 7F4C0280
	v_mov_b32_e32 v167, 0                                      // 000000004D78: 7F4E0280

0000000000004d7c <label_03DF>:
	v_perm_b32 v200, v153, v152, s63                           // 000000004D7C: D1ED00C8 00FF3199
	v_perm_b32 v201, v153, v152, s64                           // 000000004D84: D1ED00C9 01033199
	v_perm_b32 v202, v155, v154, s63                           // 000000004D8C: D1ED00CA 00FF359B
	v_perm_b32 v203, v155, v154, s64                           // 000000004D94: D1ED00CB 0103359B
	v_perm_b32 v204, v157, v156, s63                           // 000000004D9C: D1ED00CC 00FF399D
	v_perm_b32 v205, v157, v156, s64                           // 000000004DA4: D1ED00CD 0103399D
	v_perm_b32 v206, v159, v158, s63                           // 000000004DAC: D1ED00CE 00FF3D9F
	v_perm_b32 v207, v159, v158, s64                           // 000000004DB4: D1ED00CF 01033D9F
	v_perm_b32 v208, v161, v160, s63                           // 000000004DBC: D1ED00D0 00FF41A1
	v_perm_b32 v209, v161, v160, s64                           // 000000004DC4: D1ED00D1 010341A1
	v_perm_b32 v210, v163, v162, s63                           // 000000004DCC: D1ED00D2 00FF45A3
	v_perm_b32 v211, v163, v162, s64                           // 000000004DD4: D1ED00D3 010345A3
	v_perm_b32 v212, v165, v164, s63                           // 000000004DDC: D1ED00D4 00FF49A5
	v_perm_b32 v213, v165, v164, s64                           // 000000004DE4: D1ED00D5 010349A5
	v_perm_b32 v214, v167, v166, s63                           // 000000004DEC: D1ED00D6 00FF4DA7
	v_perm_b32 v215, v167, v166, s64                           // 000000004DF4: D1ED00D7 01034DA7
	ds_write_b32 v13, v200 offset:17408                        // 000000004DFC: D81A4400 0000C80D
	ds_write_b32 v13, v201 offset:18464                        // 000000004E04: D81A4820 0000C90D
	ds_write_b32 v13, v202 offset:17536                        // 000000004E0C: D81A4480 0000CA0D
	ds_write_b32 v13, v203 offset:18592                        // 000000004E14: D81A48A0 0000CB0D
	ds_write_b32 v13, v204 offset:21760                        // 000000004E1C: D81A5500 0000CC0D
	ds_write_b32 v13, v205 offset:22816                        // 000000004E24: D81A5920 0000CD0D
	ds_write_b32 v13, v206 offset:21888                        // 000000004E2C: D81A5580 0000CE0D
	ds_write_b32 v13, v207 offset:22944                        // 000000004E34: D81A59A0 0000CF0D
	ds_write_b32 v13, v208 offset:26112                        // 000000004E3C: D81A6600 0000D00D
	ds_write_b32 v13, v209 offset:27168                        // 000000004E44: D81A6A20 0000D10D
	ds_write_b32 v13, v210 offset:26240                        // 000000004E4C: D81A6680 0000D20D
	ds_write_b32 v13, v211 offset:27296                        // 000000004E54: D81A6AA0 0000D30D
	ds_write_b32 v13, v212 offset:30464                        // 000000004E5C: D81A7700 0000D40D
	ds_write_b32 v13, v213 offset:31520                        // 000000004E64: D81A7B20 0000D50D
	ds_write_b32 v13, v214 offset:30592                        // 000000004E6C: D81A7780 0000D60D
	ds_write_b32 v13, v215 offset:31648                        // 000000004E74: D81A7BA0 0000D70D
	ds_write_b32 v11, v152                                     // 000000004E7C: D81A0000 0000980B
	ds_write_b32 v11, v153 offset:1056                         // 000000004E84: D81A0420 0000990B
	ds_write_b32 v11, v154 offset:128                          // 000000004E8C: D81A0080 00009A0B
	ds_write_b32 v11, v155 offset:1184                         // 000000004E94: D81A04A0 00009B0B
	ds_write_b32 v11, v156 offset:4352                         // 000000004E9C: D81A1100 00009C0B
	ds_write_b32 v11, v157 offset:5408                         // 000000004EA4: D81A1520 00009D0B
	ds_write_b32 v11, v158 offset:4480                         // 000000004EAC: D81A1180 00009E0B
	ds_write_b32 v11, v159 offset:5536                         // 000000004EB4: D81A15A0 00009F0B
	ds_write_b32 v11, v160 offset:8704                         // 000000004EBC: D81A2200 0000A00B
	ds_write_b32 v11, v161 offset:9760                         // 000000004EC4: D81A2620 0000A10B
	ds_write_b32 v11, v162 offset:8832                         // 000000004ECC: D81A2280 0000A20B
	ds_write_b32 v11, v163 offset:9888                         // 000000004ED4: D81A26A0 0000A30B
	ds_write_b32 v11, v164 offset:13056                        // 000000004EDC: D81A3300 0000A40B
	ds_write_b32 v11, v165 offset:14112                        // 000000004EE4: D81A3720 0000A50B
	ds_write_b32 v11, v166 offset:13184                        // 000000004EEC: D81A3380 0000A60B
	ds_write_b32 v11, v167 offset:14240                        // 000000004EF4: D81A37A0 0000A70B
	v_mov_b32_e32 v152, 0                                      // 000000004EFC: 7F300280
	s_mov_b64 exec, s[86:87]                                   // 000000004F00: BEFE0156
	buffer_load_dword v152, v248, s[16:19], 0 idxen            // 000000004F04: E0502000 800498F8
	s_mov_b64 exec, s[84:85]                                   // 000000004F0C: BEFE0154
	v_mov_b32_e32 v153, 0                                      // 000000004F10: 7F320280
	s_mov_b64 exec, s[86:87]                                   // 000000004F14: BEFE0156
	buffer_load_dword v153, v249, s[16:19], 0 idxen            // 000000004F18: E0502000 800499F9
	s_mov_b64 exec, s[84:85]                                   // 000000004F20: BEFE0154
	v_mov_b32_e32 v154, 0                                      // 000000004F24: 7F340280
	s_mov_b64 exec, s[86:87]                                   // 000000004F28: BEFE0156
	buffer_load_dword v154, v250, s[16:19], 0 idxen            // 000000004F2C: E0502000 80049AFA
	s_mov_b64 exec, s[84:85]                                   // 000000004F34: BEFE0154
	v_mov_b32_e32 v155, 0                                      // 000000004F38: 7F360280
	s_mov_b64 exec, s[86:87]                                   // 000000004F3C: BEFE0156
	buffer_load_dword v155, v251, s[16:19], 0 idxen            // 000000004F40: E0502000 80049BFB
	s_mov_b64 exec, s[84:85]                                   // 000000004F48: BEFE0154
	s_mul_i32 s60, 4, s7                                       // 000000004F4C: 923C0784
	s_cmp_lt_i32 0, s73                                        // 000000004F50: BF044980
	s_cselect_b32 s60, s60, 0                                  // 000000004F54: 853C803C
	v_add_u32_e32 v248, s60, v248                              // 000000004F58: 69F1F03C
	v_add_u32_e32 v249, s60, v249                              // 000000004F5C: 69F3F23C
	v_add_u32_e32 v250, s60, v250                              // 000000004F60: 69F5F43C
	v_add_u32_e32 v251, s60, v251                              // 000000004F64: 69F7F63C
	v_mov_b32_e32 v156, 0                                      // 000000004F68: 7F380280
	s_mov_b64 exec, s[86:87]                                   // 000000004F6C: BEFE0156
	buffer_load_dword v156, v248, s[16:19], 0 idxen            // 000000004F70: E0502000 80049CF8
	s_mov_b64 exec, s[84:85]                                   // 000000004F78: BEFE0154
	v_mov_b32_e32 v157, 0                                      // 000000004F7C: 7F3A0280
	s_mov_b64 exec, s[86:87]                                   // 000000004F80: BEFE0156
	buffer_load_dword v157, v249, s[16:19], 0 idxen            // 000000004F84: E0502000 80049DF9
	s_mov_b64 exec, s[84:85]                                   // 000000004F8C: BEFE0154
	v_mov_b32_e32 v158, 0                                      // 000000004F90: 7F3C0280
	s_mov_b64 exec, s[86:87]                                   // 000000004F94: BEFE0156
	buffer_load_dword v158, v250, s[16:19], 0 idxen            // 000000004F98: E0502000 80049EFA
	s_mov_b64 exec, s[84:85]                                   // 000000004FA0: BEFE0154
	v_mov_b32_e32 v159, 0                                      // 000000004FA4: 7F3E0280
	s_mov_b64 exec, s[86:87]                                   // 000000004FA8: BEFE0156
	buffer_load_dword v159, v251, s[16:19], 0 idxen            // 000000004FAC: E0502000 80049FFB
	s_mov_b64 exec, s[84:85]                                   // 000000004FB4: BEFE0154
	s_mul_i32 s60, 4, s7                                       // 000000004FB8: 923C0784
	s_cmp_lt_i32 0, s73                                        // 000000004FBC: BF044980
	s_cselect_b32 s60, s60, 0                                  // 000000004FC0: 853C803C
	v_add_u32_e32 v248, s60, v248                              // 000000004FC4: 69F1F03C
	v_add_u32_e32 v249, s60, v249                              // 000000004FC8: 69F3F23C
	v_add_u32_e32 v250, s60, v250                              // 000000004FCC: 69F5F43C
	v_add_u32_e32 v251, s60, v251                              // 000000004FD0: 69F7F63C
	v_mov_b32_e32 v160, 0                                      // 000000004FD4: 7F400280
	s_mov_b64 exec, s[86:87]                                   // 000000004FD8: BEFE0156
	buffer_load_dword v160, v248, s[16:19], 0 idxen            // 000000004FDC: E0502000 8004A0F8
	s_mov_b64 exec, s[84:85]                                   // 000000004FE4: BEFE0154
	v_mov_b32_e32 v161, 0                                      // 000000004FE8: 7F420280
	s_mov_b64 exec, s[86:87]                                   // 000000004FEC: BEFE0156
	buffer_load_dword v161, v249, s[16:19], 0 idxen            // 000000004FF0: E0502000 8004A1F9
	s_mov_b64 exec, s[84:85]                                   // 000000004FF8: BEFE0154
	v_mov_b32_e32 v162, 0                                      // 000000004FFC: 7F440280
	s_mov_b64 exec, s[86:87]                                   // 000000005000: BEFE0156
	buffer_load_dword v162, v250, s[16:19], 0 idxen            // 000000005004: E0502000 8004A2FA
	s_mov_b64 exec, s[84:85]                                   // 00000000500C: BEFE0154
	v_mov_b32_e32 v163, 0                                      // 000000005010: 7F460280
	s_mov_b64 exec, s[86:87]                                   // 000000005014: BEFE0156
	buffer_load_dword v163, v251, s[16:19], 0 idxen            // 000000005018: E0502000 8004A3FB
	s_mov_b64 exec, s[84:85]                                   // 000000005020: BEFE0154
	s_mul_i32 s60, 4, s7                                       // 000000005024: 923C0784
	s_cmp_lt_i32 0, s73                                        // 000000005028: BF044980
	s_cselect_b32 s60, s60, 0                                  // 00000000502C: 853C803C
	v_add_u32_e32 v248, s60, v248                              // 000000005030: 69F1F03C
	v_add_u32_e32 v249, s60, v249                              // 000000005034: 69F3F23C
	v_add_u32_e32 v250, s60, v250                              // 000000005038: 69F5F43C
	v_add_u32_e32 v251, s60, v251                              // 00000000503C: 69F7F63C
	v_mov_b32_e32 v164, 0                                      // 000000005040: 7F480280
	s_mov_b64 exec, s[86:87]                                   // 000000005044: BEFE0156
	buffer_load_dword v164, v248, s[16:19], 0 idxen            // 000000005048: E0502000 8004A4F8
	s_mov_b64 exec, s[84:85]                                   // 000000005050: BEFE0154
	v_mov_b32_e32 v165, 0                                      // 000000005054: 7F4A0280
	s_mov_b64 exec, s[86:87]                                   // 000000005058: BEFE0156
	buffer_load_dword v165, v249, s[16:19], 0 idxen            // 00000000505C: E0502000 8004A5F9
	s_mov_b64 exec, s[84:85]                                   // 000000005064: BEFE0154
	v_mov_b32_e32 v166, 0                                      // 000000005068: 7F4C0280
	s_mov_b64 exec, s[86:87]                                   // 00000000506C: BEFE0156
	buffer_load_dword v166, v250, s[16:19], 0 idxen            // 000000005070: E0502000 8004A6FA
	s_mov_b64 exec, s[84:85]                                   // 000000005078: BEFE0154
	v_mov_b32_e32 v167, 0                                      // 00000000507C: 7F4E0280
	s_mov_b64 exec, s[86:87]                                   // 000000005080: BEFE0156
	buffer_load_dword v167, v251, s[16:19], 0 idxen            // 000000005084: E0502000 8004A7FB
	s_mov_b64 exec, s[84:85]                                   // 00000000508C: BEFE0154
	s_mul_i32 s60, 4, s7                                       // 000000005090: 923C0784
	s_cmp_lt_i32 1, s73                                        // 000000005094: BF044981
	s_cselect_b32 s60, s60, 0                                  // 000000005098: 853C803C
	v_add_u32_e32 v248, s60, v248                              // 00000000509C: 69F1F03C
	v_add_u32_e32 v249, s60, v249                              // 0000000050A0: 69F3F23C
	v_add_u32_e32 v250, s60, v250                              // 0000000050A4: 69F5F43C
	v_add_u32_e32 v251, s60, v251                              // 0000000050A8: 69F7F63C
	s_waitcnt lgkmcnt(0)                                       // 0000000050AC: BF8CC07F
	s_barrier                                                  // 0000000050B0: BF8A0000
	ds_read_b128 a[48:51], v23 offset:17408                    // 0000000050B4: DBFE4400 30000017
	ds_read_b128 a[52:55], v23 offset:17664                    // 0000000050BC: DBFE4500 34000017
	ds_read_b128 a[56:59], v23 offset:26112                    // 0000000050C4: DBFE6600 38000017
	ds_read_b128 a[60:63], v23 offset:26368                    // 0000000050CC: DBFE6700 3C000017
	ds_read_b128 a[0:3], v22                                   // 0000000050D4: DBFE0000 00000016
	ds_read_b128 a[4:7], v22 offset:512                        // 0000000050DC: DBFE0200 04000016
	ds_read_b128 a[8:11], v22 offset:2176                      // 0000000050E4: DBFE0880 08000016
	ds_read_b128 a[12:15], v22 offset:2688                     // 0000000050EC: DBFE0A80 0C000016
	s_waitcnt vmcnt(32) lgkmcnt(0)                             // 0000000050F4: BF8C8070
	s_barrier                                                  // 0000000050F8: BF8A0000
	s_cmp_lt_i32 1, s73                                        // 0000000050FC: BF044981
	s_cbranch_scc1 label_04D1                                  // 000000005100: BF850010
	v_mov_b32_e32 v168, 0                                      // 000000005104: 7F500280
	v_mov_b32_e32 v169, 0                                      // 000000005108: 7F520280
	v_mov_b32_e32 v170, 0                                      // 00000000510C: 7F540280
	v_mov_b32_e32 v171, 0                                      // 000000005110: 7F560280
	v_mov_b32_e32 v172, 0                                      // 000000005114: 7F580280
	v_mov_b32_e32 v173, 0                                      // 000000005118: 7F5A0280
	v_mov_b32_e32 v174, 0                                      // 00000000511C: 7F5C0280
	v_mov_b32_e32 v175, 0                                      // 000000005120: 7F5E0280
	v_mov_b32_e32 v176, 0                                      // 000000005124: 7F600280
	v_mov_b32_e32 v177, 0                                      // 000000005128: 7F620280
	v_mov_b32_e32 v178, 0                                      // 00000000512C: 7F640280
	v_mov_b32_e32 v179, 0                                      // 000000005130: 7F660280
	v_mov_b32_e32 v180, 0                                      // 000000005134: 7F680280
	v_mov_b32_e32 v181, 0                                      // 000000005138: 7F6A0280
	v_mov_b32_e32 v182, 0                                      // 00000000513C: 7F6C0280
	v_mov_b32_e32 v183, 0                                      // 000000005140: 7F6E0280

0000000000005144 <label_04D1>:
	v_perm_b32 v200, v169, v168, s63                           // 000000005144: D1ED00C8 00FF51A9
	v_perm_b32 v201, v169, v168, s64                           // 00000000514C: D1ED00C9 010351A9
	v_perm_b32 v202, v171, v170, s63                           // 000000005154: D1ED00CA 00FF55AB
	v_perm_b32 v203, v171, v170, s64                           // 00000000515C: D1ED00CB 010355AB
	v_perm_b32 v204, v173, v172, s63                           // 000000005164: D1ED00CC 00FF59AD
	v_perm_b32 v205, v173, v172, s64                           // 00000000516C: D1ED00CD 010359AD
	v_perm_b32 v206, v175, v174, s63                           // 000000005174: D1ED00CE 00FF5DAF
	v_perm_b32 v207, v175, v174, s64                           // 00000000517C: D1ED00CF 01035DAF
	v_perm_b32 v208, v177, v176, s63                           // 000000005184: D1ED00D0 00FF61B1
	v_perm_b32 v209, v177, v176, s64                           // 00000000518C: D1ED00D1 010361B1
	v_perm_b32 v210, v179, v178, s63                           // 000000005194: D1ED00D2 00FF65B3
	v_perm_b32 v211, v179, v178, s64                           // 00000000519C: D1ED00D3 010365B3
	v_perm_b32 v212, v181, v180, s63                           // 0000000051A4: D1ED00D4 00FF69B5
	v_perm_b32 v213, v181, v180, s64                           // 0000000051AC: D1ED00D5 010369B5
	v_perm_b32 v214, v183, v182, s63                           // 0000000051B4: D1ED00D6 00FF6DB7
	v_perm_b32 v215, v183, v182, s64                           // 0000000051BC: D1ED00D7 01036DB7
	ds_write_b32 v13, v200 offset:17408                        // 0000000051C4: D81A4400 0000C80D
	ds_write_b32 v13, v201 offset:18464                        // 0000000051CC: D81A4820 0000C90D
	ds_write_b32 v13, v202 offset:17536                        // 0000000051D4: D81A4480 0000CA0D
	ds_write_b32 v13, v203 offset:18592                        // 0000000051DC: D81A48A0 0000CB0D
	ds_write_b32 v13, v204 offset:21760                        // 0000000051E4: D81A5500 0000CC0D
	ds_write_b32 v13, v205 offset:22816                        // 0000000051EC: D81A5920 0000CD0D
	ds_write_b32 v13, v206 offset:21888                        // 0000000051F4: D81A5580 0000CE0D
	ds_write_b32 v13, v207 offset:22944                        // 0000000051FC: D81A59A0 0000CF0D
	ds_write_b32 v13, v208 offset:26112                        // 000000005204: D81A6600 0000D00D
	ds_write_b32 v13, v209 offset:27168                        // 00000000520C: D81A6A20 0000D10D
	ds_write_b32 v13, v210 offset:26240                        // 000000005214: D81A6680 0000D20D
	ds_write_b32 v13, v211 offset:27296                        // 00000000521C: D81A6AA0 0000D30D
	ds_write_b32 v13, v212 offset:30464                        // 000000005224: D81A7700 0000D40D
	ds_write_b32 v13, v213 offset:31520                        // 00000000522C: D81A7B20 0000D50D
	ds_write_b32 v13, v214 offset:30592                        // 000000005234: D81A7780 0000D60D
	ds_write_b32 v13, v215 offset:31648                        // 00000000523C: D81A7BA0 0000D70D
	ds_write_b32 v11, v168                                     // 000000005244: D81A0000 0000A80B
	ds_write_b32 v11, v169 offset:1056                         // 00000000524C: D81A0420 0000A90B
	ds_write_b32 v11, v170 offset:128                          // 000000005254: D81A0080 0000AA0B
	ds_write_b32 v11, v171 offset:1184                         // 00000000525C: D81A04A0 0000AB0B
	ds_write_b32 v11, v172 offset:4352                         // 000000005264: D81A1100 0000AC0B
	ds_write_b32 v11, v173 offset:5408                         // 00000000526C: D81A1520 0000AD0B
	ds_write_b32 v11, v174 offset:4480                         // 000000005274: D81A1180 0000AE0B
	ds_write_b32 v11, v175 offset:5536                         // 00000000527C: D81A15A0 0000AF0B
	ds_write_b32 v11, v176 offset:8704                         // 000000005284: D81A2200 0000B00B
	ds_write_b32 v11, v177 offset:9760                         // 00000000528C: D81A2620 0000B10B
	ds_write_b32 v11, v178 offset:8832                         // 000000005294: D81A2280 0000B20B
	ds_write_b32 v11, v179 offset:9888                         // 00000000529C: D81A26A0 0000B30B
	ds_write_b32 v11, v180 offset:13056                        // 0000000052A4: D81A3300 0000B40B
	ds_write_b32 v11, v181 offset:14112                        // 0000000052AC: D81A3720 0000B50B
	ds_write_b32 v11, v182 offset:13184                        // 0000000052B4: D81A3380 0000B60B
	ds_write_b32 v11, v183 offset:14240                        // 0000000052BC: D81A37A0 0000B70B
	v_mov_b32_e32 v168, 0                                      // 0000000052C4: 7F500280
	s_mov_b64 exec, s[86:87]                                   // 0000000052C8: BEFE0156
	buffer_load_dword v168, v248, s[16:19], 0 idxen            // 0000000052CC: E0502000 8004A8F8
	s_mov_b64 exec, s[84:85]                                   // 0000000052D4: BEFE0154
	v_mov_b32_e32 v169, 0                                      // 0000000052D8: 7F520280
	s_mov_b64 exec, s[86:87]                                   // 0000000052DC: BEFE0156
	buffer_load_dword v169, v249, s[16:19], 0 idxen            // 0000000052E0: E0502000 8004A9F9
	s_mov_b64 exec, s[84:85]                                   // 0000000052E8: BEFE0154
	v_mov_b32_e32 v170, 0                                      // 0000000052EC: 7F540280
	s_mov_b64 exec, s[86:87]                                   // 0000000052F0: BEFE0156
	buffer_load_dword v170, v250, s[16:19], 0 idxen            // 0000000052F4: E0502000 8004AAFA
	s_mov_b64 exec, s[84:85]                                   // 0000000052FC: BEFE0154
	v_mov_b32_e32 v171, 0                                      // 000000005300: 7F560280
	s_mov_b64 exec, s[86:87]                                   // 000000005304: BEFE0156
	buffer_load_dword v171, v251, s[16:19], 0 idxen            // 000000005308: E0502000 8004ABFB
	s_mov_b64 exec, s[84:85]                                   // 000000005310: BEFE0154
	s_mul_i32 s60, 4, s7                                       // 000000005314: 923C0784
	s_cmp_lt_i32 1, s73                                        // 000000005318: BF044981
	s_cselect_b32 s60, s60, 0                                  // 00000000531C: 853C803C
	v_add_u32_e32 v248, s60, v248                              // 000000005320: 69F1F03C
	v_add_u32_e32 v249, s60, v249                              // 000000005324: 69F3F23C
	v_add_u32_e32 v250, s60, v250                              // 000000005328: 69F5F43C
	v_add_u32_e32 v251, s60, v251                              // 00000000532C: 69F7F63C
	v_mov_b32_e32 v172, 0                                      // 000000005330: 7F580280
	s_mov_b64 exec, s[86:87]                                   // 000000005334: BEFE0156
	buffer_load_dword v172, v248, s[16:19], 0 idxen            // 000000005338: E0502000 8004ACF8
	s_mov_b64 exec, s[84:85]                                   // 000000005340: BEFE0154
	v_mov_b32_e32 v173, 0                                      // 000000005344: 7F5A0280
	s_mov_b64 exec, s[86:87]                                   // 000000005348: BEFE0156
	buffer_load_dword v173, v249, s[16:19], 0 idxen            // 00000000534C: E0502000 8004ADF9
	s_mov_b64 exec, s[84:85]                                   // 000000005354: BEFE0154
	v_mov_b32_e32 v174, 0                                      // 000000005358: 7F5C0280
	s_mov_b64 exec, s[86:87]                                   // 00000000535C: BEFE0156
	buffer_load_dword v174, v250, s[16:19], 0 idxen            // 000000005360: E0502000 8004AEFA
	s_mov_b64 exec, s[84:85]                                   // 000000005368: BEFE0154
	v_mov_b32_e32 v175, 0                                      // 00000000536C: 7F5E0280
	s_mov_b64 exec, s[86:87]                                   // 000000005370: BEFE0156
	buffer_load_dword v175, v251, s[16:19], 0 idxen            // 000000005374: E0502000 8004AFFB
	s_mov_b64 exec, s[84:85]                                   // 00000000537C: BEFE0154
	s_mul_i32 s60, 4, s7                                       // 000000005380: 923C0784
	s_cmp_lt_i32 1, s73                                        // 000000005384: BF044981
	s_cselect_b32 s60, s60, 0                                  // 000000005388: 853C803C
	v_add_u32_e32 v248, s60, v248                              // 00000000538C: 69F1F03C
	v_add_u32_e32 v249, s60, v249                              // 000000005390: 69F3F23C
	v_add_u32_e32 v250, s60, v250                              // 000000005394: 69F5F43C
	v_add_u32_e32 v251, s60, v251                              // 000000005398: 69F7F63C
	v_mov_b32_e32 v176, 0                                      // 00000000539C: 7F600280
	s_mov_b64 exec, s[86:87]                                   // 0000000053A0: BEFE0156
	buffer_load_dword v176, v248, s[16:19], 0 idxen            // 0000000053A4: E0502000 8004B0F8
	s_mov_b64 exec, s[84:85]                                   // 0000000053AC: BEFE0154
	v_mov_b32_e32 v177, 0                                      // 0000000053B0: 7F620280
	s_mov_b64 exec, s[86:87]                                   // 0000000053B4: BEFE0156
	buffer_load_dword v177, v249, s[16:19], 0 idxen            // 0000000053B8: E0502000 8004B1F9
	s_mov_b64 exec, s[84:85]                                   // 0000000053C0: BEFE0154
	v_mov_b32_e32 v178, 0                                      // 0000000053C4: 7F640280
	s_mov_b64 exec, s[86:87]                                   // 0000000053C8: BEFE0156
	buffer_load_dword v178, v250, s[16:19], 0 idxen            // 0000000053CC: E0502000 8004B2FA
	s_mov_b64 exec, s[84:85]                                   // 0000000053D4: BEFE0154
	v_mov_b32_e32 v179, 0                                      // 0000000053D8: 7F660280
	s_mov_b64 exec, s[86:87]                                   // 0000000053DC: BEFE0156
	buffer_load_dword v179, v251, s[16:19], 0 idxen            // 0000000053E0: E0502000 8004B3FB
	s_mov_b64 exec, s[84:85]                                   // 0000000053E8: BEFE0154
	s_mul_i32 s60, 4, s7                                       // 0000000053EC: 923C0784
	s_cmp_lt_i32 1, s73                                        // 0000000053F0: BF044981
	s_cselect_b32 s60, s60, 0                                  // 0000000053F4: 853C803C
	v_add_u32_e32 v248, s60, v248                              // 0000000053F8: 69F1F03C
	v_add_u32_e32 v249, s60, v249                              // 0000000053FC: 69F3F23C
	v_add_u32_e32 v250, s60, v250                              // 000000005400: 69F5F43C
	v_add_u32_e32 v251, s60, v251                              // 000000005404: 69F7F63C
	v_mov_b32_e32 v180, 0                                      // 000000005408: 7F680280
	s_mov_b64 exec, s[86:87]                                   // 00000000540C: BEFE0156
	buffer_load_dword v180, v248, s[16:19], 0 idxen            // 000000005410: E0502000 8004B4F8
	s_mov_b64 exec, s[84:85]                                   // 000000005418: BEFE0154
	v_mov_b32_e32 v181, 0                                      // 00000000541C: 7F6A0280
	s_mov_b64 exec, s[86:87]                                   // 000000005420: BEFE0156
	buffer_load_dword v181, v249, s[16:19], 0 idxen            // 000000005424: E0502000 8004B5F9
	s_mov_b64 exec, s[84:85]                                   // 00000000542C: BEFE0154
	v_mov_b32_e32 v182, 0                                      // 000000005430: 7F6C0280
	s_mov_b64 exec, s[86:87]                                   // 000000005434: BEFE0156
	buffer_load_dword v182, v250, s[16:19], 0 idxen            // 000000005438: E0502000 8004B6FA
	s_mov_b64 exec, s[84:85]                                   // 000000005440: BEFE0154
	v_mov_b32_e32 v183, 0                                      // 000000005444: 7F6E0280
	s_mov_b64 exec, s[86:87]                                   // 000000005448: BEFE0156
	buffer_load_dword v183, v251, s[16:19], 0 idxen            // 00000000544C: E0502000 8004B7FB
	s_mov_b64 exec, s[84:85]                                   // 000000005454: BEFE0154
	s_mul_i32 s60, 4, s7                                       // 000000005458: 923C0784
	s_cmp_lt_i32 2, s73                                        // 00000000545C: BF044982
	s_cselect_b32 s60, s60, 0                                  // 000000005460: 853C803C
	v_add_u32_e32 v248, s60, v248                              // 000000005464: 69F1F03C
	v_add_u32_e32 v249, s60, v249                              // 000000005468: 69F3F23C
	v_add_u32_e32 v250, s60, v250                              // 00000000546C: 69F5F43C
	v_add_u32_e32 v251, s60, v251                              // 000000005470: 69F7F63C
	s_waitcnt lgkmcnt(0)                                       // 000000005474: BF8CC07F
	s_barrier                                                  // 000000005478: BF8A0000
	ds_read_b128 a[64:67], v23 offset:17408                    // 00000000547C: DBFE4400 40000017
	ds_read_b128 a[68:71], v23 offset:17664                    // 000000005484: DBFE4500 44000017
	ds_read_b128 a[72:75], v23 offset:26112                    // 00000000548C: DBFE6600 48000017
	ds_read_b128 a[76:79], v23 offset:26368                    // 000000005494: DBFE6700 4C000017
	ds_read_b128 a[16:19], v22                                 // 00000000549C: DBFE0000 10000016
	ds_read_b128 a[20:23], v22 offset:512                      // 0000000054A4: DBFE0200 14000016
	ds_read_b128 a[24:27], v22 offset:2176                     // 0000000054AC: DBFE0880 18000016
	ds_read_b128 a[28:31], v22 offset:2688                     // 0000000054B4: DBFE0A80 1C000016
	s_waitcnt vmcnt(32) lgkmcnt(0)                             // 0000000054BC: BF8C8070
	s_barrier                                                  // 0000000054C0: BF8A0000
	s_cmp_lt_i32 2, s73                                        // 0000000054C4: BF044982
	s_cbranch_scc1 label_05C3                                  // 0000000054C8: BF850010
	v_mov_b32_e32 v184, 0                                      // 0000000054CC: 7F700280
	v_mov_b32_e32 v185, 0                                      // 0000000054D0: 7F720280
	v_mov_b32_e32 v186, 0                                      // 0000000054D4: 7F740280
	v_mov_b32_e32 v187, 0                                      // 0000000054D8: 7F760280
	v_mov_b32_e32 v188, 0                                      // 0000000054DC: 7F780280
	v_mov_b32_e32 v189, 0                                      // 0000000054E0: 7F7A0280
	v_mov_b32_e32 v190, 0                                      // 0000000054E4: 7F7C0280
	v_mov_b32_e32 v191, 0                                      // 0000000054E8: 7F7E0280
	v_mov_b32_e32 v192, 0                                      // 0000000054EC: 7F800280
	v_mov_b32_e32 v193, 0                                      // 0000000054F0: 7F820280
	v_mov_b32_e32 v194, 0                                      // 0000000054F4: 7F840280
	v_mov_b32_e32 v195, 0                                      // 0000000054F8: 7F860280
	v_mov_b32_e32 v196, 0                                      // 0000000054FC: 7F880280
	v_mov_b32_e32 v197, 0                                      // 000000005500: 7F8A0280
	v_mov_b32_e32 v198, 0                                      // 000000005504: 7F8C0280
	v_mov_b32_e32 v199, 0                                      // 000000005508: 7F8E0280

000000000000550c <label_05C3>:
	v_perm_b32 v200, v185, v184, s63                           // 00000000550C: D1ED00C8 00FF71B9
	v_perm_b32 v201, v185, v184, s64                           // 000000005514: D1ED00C9 010371B9
	v_perm_b32 v202, v187, v186, s63                           // 00000000551C: D1ED00CA 00FF75BB
	v_perm_b32 v203, v187, v186, s64                           // 000000005524: D1ED00CB 010375BB
	v_perm_b32 v204, v189, v188, s63                           // 00000000552C: D1ED00CC 00FF79BD
	v_perm_b32 v205, v189, v188, s64                           // 000000005534: D1ED00CD 010379BD
	v_perm_b32 v206, v191, v190, s63                           // 00000000553C: D1ED00CE 00FF7DBF
	v_perm_b32 v207, v191, v190, s64                           // 000000005544: D1ED00CF 01037DBF
	v_perm_b32 v208, v193, v192, s63                           // 00000000554C: D1ED00D0 00FF81C1
	v_perm_b32 v209, v193, v192, s64                           // 000000005554: D1ED00D1 010381C1
	v_perm_b32 v210, v195, v194, s63                           // 00000000555C: D1ED00D2 00FF85C3
	v_perm_b32 v211, v195, v194, s64                           // 000000005564: D1ED00D3 010385C3
	v_perm_b32 v212, v197, v196, s63                           // 00000000556C: D1ED00D4 00FF89C5
	v_perm_b32 v213, v197, v196, s64                           // 000000005574: D1ED00D5 010389C5
	v_perm_b32 v214, v199, v198, s63                           // 00000000557C: D1ED00D6 00FF8DC7
	v_perm_b32 v215, v199, v198, s64                           // 000000005584: D1ED00D7 01038DC7
	ds_write_b32 v13, v200 offset:17408                        // 00000000558C: D81A4400 0000C80D
	ds_write_b32 v13, v201 offset:18464                        // 000000005594: D81A4820 0000C90D
	ds_write_b32 v13, v202 offset:17536                        // 00000000559C: D81A4480 0000CA0D
	ds_write_b32 v13, v203 offset:18592                        // 0000000055A4: D81A48A0 0000CB0D
	ds_write_b32 v13, v204 offset:21760                        // 0000000055AC: D81A5500 0000CC0D
	ds_write_b32 v13, v205 offset:22816                        // 0000000055B4: D81A5920 0000CD0D
	ds_write_b32 v13, v206 offset:21888                        // 0000000055BC: D81A5580 0000CE0D
	ds_write_b32 v13, v207 offset:22944                        // 0000000055C4: D81A59A0 0000CF0D
	ds_write_b32 v13, v208 offset:26112                        // 0000000055CC: D81A6600 0000D00D
	ds_write_b32 v13, v209 offset:27168                        // 0000000055D4: D81A6A20 0000D10D
	ds_write_b32 v13, v210 offset:26240                        // 0000000055DC: D81A6680 0000D20D
	ds_write_b32 v13, v211 offset:27296                        // 0000000055E4: D81A6AA0 0000D30D
	ds_write_b32 v13, v212 offset:30464                        // 0000000055EC: D81A7700 0000D40D
	ds_write_b32 v13, v213 offset:31520                        // 0000000055F4: D81A7B20 0000D50D
	ds_write_b32 v13, v214 offset:30592                        // 0000000055FC: D81A7780 0000D60D
	ds_write_b32 v13, v215 offset:31648                        // 000000005604: D81A7BA0 0000D70D
	ds_write_b32 v11, v184                                     // 00000000560C: D81A0000 0000B80B
	ds_write_b32 v11, v185 offset:1056                         // 000000005614: D81A0420 0000B90B
	ds_write_b32 v11, v186 offset:128                          // 00000000561C: D81A0080 0000BA0B
	ds_write_b32 v11, v187 offset:1184                         // 000000005624: D81A04A0 0000BB0B
	ds_write_b32 v11, v188 offset:4352                         // 00000000562C: D81A1100 0000BC0B
	ds_write_b32 v11, v189 offset:5408                         // 000000005634: D81A1520 0000BD0B
	ds_write_b32 v11, v190 offset:4480                         // 00000000563C: D81A1180 0000BE0B
	ds_write_b32 v11, v191 offset:5536                         // 000000005644: D81A15A0 0000BF0B
	ds_write_b32 v11, v192 offset:8704                         // 00000000564C: D81A2200 0000C00B
	ds_write_b32 v11, v193 offset:9760                         // 000000005654: D81A2620 0000C10B
	ds_write_b32 v11, v194 offset:8832                         // 00000000565C: D81A2280 0000C20B
	ds_write_b32 v11, v195 offset:9888                         // 000000005664: D81A26A0 0000C30B
	ds_write_b32 v11, v196 offset:13056                        // 00000000566C: D81A3300 0000C40B
	ds_write_b32 v11, v197 offset:14112                        // 000000005674: D81A3720 0000C50B
	ds_write_b32 v11, v198 offset:13184                        // 00000000567C: D81A3380 0000C60B
	ds_write_b32 v11, v199 offset:14240                        // 000000005684: D81A37A0 0000C70B
	v_mov_b32_e32 v184, 0                                      // 00000000568C: 7F700280
	s_mov_b64 exec, s[86:87]                                   // 000000005690: BEFE0156
	buffer_load_dword v184, v248, s[16:19], 0 idxen            // 000000005694: E0502000 8004B8F8
	s_mov_b64 exec, s[84:85]                                   // 00000000569C: BEFE0154
	v_mov_b32_e32 v185, 0                                      // 0000000056A0: 7F720280
	s_mov_b64 exec, s[86:87]                                   // 0000000056A4: BEFE0156
	buffer_load_dword v185, v249, s[16:19], 0 idxen            // 0000000056A8: E0502000 8004B9F9
	s_mov_b64 exec, s[84:85]                                   // 0000000056B0: BEFE0154
	v_mov_b32_e32 v186, 0                                      // 0000000056B4: 7F740280
	s_mov_b64 exec, s[86:87]                                   // 0000000056B8: BEFE0156
	buffer_load_dword v186, v250, s[16:19], 0 idxen            // 0000000056BC: E0502000 8004BAFA
	s_mov_b64 exec, s[84:85]                                   // 0000000056C4: BEFE0154
	v_mov_b32_e32 v187, 0                                      // 0000000056C8: 7F760280
	s_mov_b64 exec, s[86:87]                                   // 0000000056CC: BEFE0156
	buffer_load_dword v187, v251, s[16:19], 0 idxen            // 0000000056D0: E0502000 8004BBFB
	s_mov_b64 exec, s[84:85]                                   // 0000000056D8: BEFE0154
	s_mul_i32 s60, 4, s7                                       // 0000000056DC: 923C0784
	s_cmp_lt_i32 2, s73                                        // 0000000056E0: BF044982
	s_cselect_b32 s60, s60, 0                                  // 0000000056E4: 853C803C
	v_add_u32_e32 v248, s60, v248                              // 0000000056E8: 69F1F03C
	v_add_u32_e32 v249, s60, v249                              // 0000000056EC: 69F3F23C
	v_add_u32_e32 v250, s60, v250                              // 0000000056F0: 69F5F43C
	v_add_u32_e32 v251, s60, v251                              // 0000000056F4: 69F7F63C
	v_mov_b32_e32 v188, 0                                      // 0000000056F8: 7F780280
	s_mov_b64 exec, s[86:87]                                   // 0000000056FC: BEFE0156
	buffer_load_dword v188, v248, s[16:19], 0 idxen            // 000000005700: E0502000 8004BCF8
	s_mov_b64 exec, s[84:85]                                   // 000000005708: BEFE0154
	v_mov_b32_e32 v189, 0                                      // 00000000570C: 7F7A0280
	s_mov_b64 exec, s[86:87]                                   // 000000005710: BEFE0156
	buffer_load_dword v189, v249, s[16:19], 0 idxen            // 000000005714: E0502000 8004BDF9
	s_mov_b64 exec, s[84:85]                                   // 00000000571C: BEFE0154
	v_mov_b32_e32 v190, 0                                      // 000000005720: 7F7C0280
	s_mov_b64 exec, s[86:87]                                   // 000000005724: BEFE0156
	buffer_load_dword v190, v250, s[16:19], 0 idxen            // 000000005728: E0502000 8004BEFA
	s_mov_b64 exec, s[84:85]                                   // 000000005730: BEFE0154
	v_mov_b32_e32 v191, 0                                      // 000000005734: 7F7E0280
	s_mov_b64 exec, s[86:87]                                   // 000000005738: BEFE0156
	buffer_load_dword v191, v251, s[16:19], 0 idxen            // 00000000573C: E0502000 8004BFFB
	s_mov_b64 exec, s[84:85]                                   // 000000005744: BEFE0154
	s_mul_i32 s60, 4, s7                                       // 000000005748: 923C0784
	s_cmp_lt_i32 2, s73                                        // 00000000574C: BF044982
	s_cselect_b32 s60, s60, 0                                  // 000000005750: 853C803C
	v_add_u32_e32 v248, s60, v248                              // 000000005754: 69F1F03C
	v_add_u32_e32 v249, s60, v249                              // 000000005758: 69F3F23C
	v_add_u32_e32 v250, s60, v250                              // 00000000575C: 69F5F43C
	v_add_u32_e32 v251, s60, v251                              // 000000005760: 69F7F63C
	v_mov_b32_e32 v192, 0                                      // 000000005764: 7F800280
	s_mov_b64 exec, s[86:87]                                   // 000000005768: BEFE0156
	buffer_load_dword v192, v248, s[16:19], 0 idxen            // 00000000576C: E0502000 8004C0F8
	s_mov_b64 exec, s[84:85]                                   // 000000005774: BEFE0154
	v_mov_b32_e32 v193, 0                                      // 000000005778: 7F820280
	s_mov_b64 exec, s[86:87]                                   // 00000000577C: BEFE0156
	buffer_load_dword v193, v249, s[16:19], 0 idxen            // 000000005780: E0502000 8004C1F9
	s_mov_b64 exec, s[84:85]                                   // 000000005788: BEFE0154
	v_mov_b32_e32 v194, 0                                      // 00000000578C: 7F840280
	s_mov_b64 exec, s[86:87]                                   // 000000005790: BEFE0156
	buffer_load_dword v194, v250, s[16:19], 0 idxen            // 000000005794: E0502000 8004C2FA
	s_mov_b64 exec, s[84:85]                                   // 00000000579C: BEFE0154
	v_mov_b32_e32 v195, 0                                      // 0000000057A0: 7F860280
	s_mov_b64 exec, s[86:87]                                   // 0000000057A4: BEFE0156
	buffer_load_dword v195, v251, s[16:19], 0 idxen            // 0000000057A8: E0502000 8004C3FB
	s_mov_b64 exec, s[84:85]                                   // 0000000057B0: BEFE0154
	s_mul_i32 s60, 4, s7                                       // 0000000057B4: 923C0784
	s_cmp_lt_i32 2, s73                                        // 0000000057B8: BF044982
	s_cselect_b32 s60, s60, 0                                  // 0000000057BC: 853C803C
	v_add_u32_e32 v248, s60, v248                              // 0000000057C0: 69F1F03C
	v_add_u32_e32 v249, s60, v249                              // 0000000057C4: 69F3F23C
	v_add_u32_e32 v250, s60, v250                              // 0000000057C8: 69F5F43C
	v_add_u32_e32 v251, s60, v251                              // 0000000057CC: 69F7F63C
	v_mov_b32_e32 v196, 0                                      // 0000000057D0: 7F880280
	s_mov_b64 exec, s[86:87]                                   // 0000000057D4: BEFE0156
	buffer_load_dword v196, v248, s[16:19], 0 idxen            // 0000000057D8: E0502000 8004C4F8
	s_mov_b64 exec, s[84:85]                                   // 0000000057E0: BEFE0154
	v_mov_b32_e32 v197, 0                                      // 0000000057E4: 7F8A0280
	s_mov_b64 exec, s[86:87]                                   // 0000000057E8: BEFE0156
	buffer_load_dword v197, v249, s[16:19], 0 idxen            // 0000000057EC: E0502000 8004C5F9
	s_mov_b64 exec, s[84:85]                                   // 0000000057F4: BEFE0154
	v_mov_b32_e32 v198, 0                                      // 0000000057F8: 7F8C0280
	s_mov_b64 exec, s[86:87]                                   // 0000000057FC: BEFE0156
	buffer_load_dword v198, v250, s[16:19], 0 idxen            // 000000005800: E0502000 8004C6FA
	s_mov_b64 exec, s[84:85]                                   // 000000005808: BEFE0154
	v_mov_b32_e32 v199, 0                                      // 00000000580C: 7F8E0280
	s_mov_b64 exec, s[86:87]                                   // 000000005810: BEFE0156
	buffer_load_dword v199, v251, s[16:19], 0 idxen            // 000000005814: E0502000 8004C7FB
	s_mov_b64 exec, s[84:85]                                   // 00000000581C: BEFE0154
	s_mul_i32 s60, 4, s7                                       // 000000005820: 923C0784
	s_cmp_lt_i32 3, s73                                        // 000000005824: BF044983
	s_cselect_b32 s60, s60, 0                                  // 000000005828: 853C803C
	v_add_u32_e32 v248, s60, v248                              // 00000000582C: 69F1F03C
	v_add_u32_e32 v249, s60, v249                              // 000000005830: 69F3F23C
	v_add_u32_e32 v250, s60, v250                              // 000000005834: 69F5F43C
	v_add_u32_e32 v251, s60, v251                              // 000000005838: 69F7F63C
	s_waitcnt lgkmcnt(0)                                       // 00000000583C: BF8CC07F
	s_barrier                                                  // 000000005840: BF8A0000
	ds_read_b128 a[80:83], v23 offset:17408                    // 000000005844: DBFE4400 50000017
	ds_read_b128 a[84:87], v23 offset:17664                    // 00000000584C: DBFE4500 54000017
	ds_read_b128 a[88:91], v23 offset:26112                    // 000000005854: DBFE6600 58000017
	ds_read_b128 a[92:95], v23 offset:26368                    // 00000000585C: DBFE6700 5C000017
	ds_read_b128 a[32:35], v22                                 // 000000005864: DBFE0000 20000016
	ds_read_b128 a[36:39], v22 offset:512                      // 00000000586C: DBFE0200 24000016
	ds_read_b128 a[40:43], v22 offset:2176                     // 000000005874: DBFE0880 28000016
	ds_read_b128 a[44:47], v22 offset:2688                     // 00000000587C: DBFE0A80 2C000016
	s_waitcnt vmcnt(32) lgkmcnt(0)                             // 000000005884: BF8C8070
	s_barrier                                                  // 000000005888: BF8A0000
	s_cmp_lt_i32 0, s73                                        // 00000000588C: BF044980
	s_cbranch_scc1 label_06B5                                  // 000000005890: BF850010
	v_mov_b32_e32 v152, 0                                      // 000000005894: 7F300280
	v_mov_b32_e32 v153, 0                                      // 000000005898: 7F320280
	v_mov_b32_e32 v154, 0                                      // 00000000589C: 7F340280
	v_mov_b32_e32 v155, 0                                      // 0000000058A0: 7F360280
	v_mov_b32_e32 v156, 0                                      // 0000000058A4: 7F380280
	v_mov_b32_e32 v157, 0                                      // 0000000058A8: 7F3A0280
	v_mov_b32_e32 v158, 0                                      // 0000000058AC: 7F3C0280
	v_mov_b32_e32 v159, 0                                      // 0000000058B0: 7F3E0280
	v_mov_b32_e32 v160, 0                                      // 0000000058B4: 7F400280
	v_mov_b32_e32 v161, 0                                      // 0000000058B8: 7F420280
	v_mov_b32_e32 v162, 0                                      // 0000000058BC: 7F440280
	v_mov_b32_e32 v163, 0                                      // 0000000058C0: 7F460280
	v_mov_b32_e32 v164, 0                                      // 0000000058C4: 7F480280
	v_mov_b32_e32 v165, 0                                      // 0000000058C8: 7F4A0280
	v_mov_b32_e32 v166, 0                                      // 0000000058CC: 7F4C0280
	v_mov_b32_e32 v167, 0                                      // 0000000058D0: 7F4E0280

00000000000058d4 <label_06B5>:
	ds_write_b32 v11, v152                                     // 0000000058D4: D81A0000 0000980B
	ds_write_b32 v11, v153 offset:1056                         // 0000000058DC: D81A0420 0000990B
	ds_write_b32 v11, v154 offset:128                          // 0000000058E4: D81A0080 00009A0B
	ds_write_b32 v11, v155 offset:1184                         // 0000000058EC: D81A04A0 00009B0B
	ds_write_b32 v11, v156 offset:4352                         // 0000000058F4: D81A1100 00009C0B
	ds_write_b32 v11, v157 offset:5408                         // 0000000058FC: D81A1520 00009D0B
	ds_write_b32 v11, v158 offset:4480                         // 000000005904: D81A1180 00009E0B
	ds_write_b32 v11, v159 offset:5536                         // 00000000590C: D81A15A0 00009F0B
	ds_write_b32 v11, v160 offset:8704                         // 000000005914: D81A2200 0000A00B
	ds_write_b32 v11, v161 offset:9760                         // 00000000591C: D81A2620 0000A10B
	ds_write_b32 v11, v162 offset:8832                         // 000000005924: D81A2280 0000A20B
	ds_write_b32 v11, v163 offset:9888                         // 00000000592C: D81A26A0 0000A30B
	ds_write_b32 v11, v164 offset:13056                        // 000000005934: D81A3300 0000A40B
	ds_write_b32 v11, v165 offset:14112                        // 00000000593C: D81A3720 0000A50B
	ds_write_b32 v11, v166 offset:13184                        // 000000005944: D81A3380 0000A60B
	ds_write_b32 v11, v167 offset:14240                        // 00000000594C: D81A37A0 0000A70B
	s_mov_b32 s71, s5                                          // 000000005954: BEC70005
	v_lshrrev_b32_e32 v28, 4, v0                               // 000000005958: 20380084
	v_and_b32_e32 v29, 1, v28                                  // 00000000595C: 263A3881
	v_lshlrev_b32_e32 v29, 1, v29                              // 000000005960: 243A3A81
	v_mul_i32_i24_e32 v29, s71, v29                            // 000000005964: 0C3A3A47
	v_and_b32_e32 v30, 2, v28                                  // 000000005968: 263C3882
	v_lshlrev_b32_e32 v30, 5, v30                              // 00000000596C: 243C3C85
	v_add_u32_e32 v29, v30, v29                                // 000000005970: 683A3B1E
	v_and_b32_e32 v28, 15, v0                                  // 000000005974: 2638008F
	v_lshlrev_b32_e32 v28, 2, v28                              // 000000005978: 24383882
	v_add_u32_e32 v1, v28, v29                                 // 00000000597C: 68023B1C
	s_and_b32 s60, 1, s46                                      // 000000005980: 863C2E81
	s_mul_i32 s60, s60, s71                                    // 000000005984: 923C473C
	s_mul_i32 s60, s60, 8                                      // 000000005988: 923C883C
	s_lshr_b32 s61, s46, 1                                     // 00000000598C: 8F3D812E
	s_mul_i32 s61, s61, 0x80                                   // 000000005990: 923DFF3D 00000080
	s_add_u32 s60, s60, s61                                    // 000000005998: 803C3D3C
	v_add_u32_e32 v1, s60, v1                                  // 00000000599C: 6802023C
	v_add_u32_e32 v2, s71, v1                                  // 0000000059A0: 68040247
	s_mul_i32 s60, 4, s71                                      // 0000000059A4: 923C4784
	v_add_u32_e32 v3, s60, v1                                  // 0000000059A8: 6806023C
	v_add_u32_e32 v4, s60, v2                                  // 0000000059AC: 6808043C
	s_mov_b32 s71, s51                                         // 0000000059B0: BEC70033
	v_lshrrev_b32_e32 v28, 4, v0                               // 0000000059B4: 20380084
	v_and_b32_e32 v29, 1, v28                                  // 0000000059B8: 263A3881
	v_lshlrev_b32_e32 v29, 1, v29                              // 0000000059BC: 243A3A81
	v_mul_i32_i24_e32 v29, s71, v29                            // 0000000059C0: 0C3A3A47
	v_and_b32_e32 v30, 2, v28                                  // 0000000059C4: 263C3882
	v_lshlrev_b32_e32 v30, 5, v30                              // 0000000059C8: 243C3C85
	v_add_u32_e32 v29, v30, v29                                // 0000000059CC: 683A3B1E
	v_and_b32_e32 v28, 15, v0                                  // 0000000059D0: 2638008F
	v_lshlrev_b32_e32 v28, 2, v28                              // 0000000059D4: 24383882
	v_add_u32_e32 v248, v28, v29                               // 0000000059D8: 69F03B1C
	s_and_b32 s60, 1, s46                                      // 0000000059DC: 863C2E81
	s_mul_i32 s60, s60, s71                                    // 0000000059E0: 923C473C
	s_mul_i32 s60, s60, 8                                      // 0000000059E4: 923C883C
	s_lshr_b32 s61, s46, 1                                     // 0000000059E8: 8F3D812E
	s_mul_i32 s61, s61, 0x80                                   // 0000000059EC: 923DFF3D 00000080
	s_add_u32 s60, s60, s61                                    // 0000000059F4: 803C3D3C
	v_add_u32_e32 v248, s60, v248                              // 0000000059F8: 69F1F03C
	v_add_u32_e32 v249, s71, v248                              // 0000000059FC: 69F3F047
	s_mul_i32 s60, 4, s71                                      // 000000005A00: 923C4784
	v_add_u32_e32 v250, s60, v248                              // 000000005A04: 69F5F03C
	v_add_u32_e32 v251, s60, v249                              // 000000005A08: 69F7F23C
	v_lshrrev_b32_e32 v1, 2, v1                                // 000000005A0C: 20020282
	v_lshrrev_b32_e32 v2, 2, v2                                // 000000005A10: 20040482
	v_lshrrev_b32_e32 v3, 2, v3                                // 000000005A14: 20060682
	v_lshrrev_b32_e32 v4, 2, v4                                // 000000005A18: 20080882
	v_lshrrev_b32_e32 v248, 2, v248                            // 000000005A1C: 21F1F082
	v_lshrrev_b32_e32 v249, 2, v249                            // 000000005A20: 21F3F282
	v_lshrrev_b32_e32 v250, 2, v250                            // 000000005A24: 21F5F482
	v_lshrrev_b32_e32 v251, 2, v251                            // 000000005A28: 21F7F682
	v_mov_b32_e32 v32, 0                                       // 000000005A2C: 7E400280
	s_mov_b64 exec, s[86:87]                                   // 000000005A30: BEFE0156
	buffer_load_dword v32, v1, s[8:11], 0 idxen                // 000000005A34: E0502000 80022001
	s_mov_b64 exec, s[84:85]                                   // 000000005A3C: BEFE0154
	v_mov_b32_e32 v33, 0                                       // 000000005A40: 7E420280
	s_mov_b64 exec, s[86:87]                                   // 000000005A44: BEFE0156
	buffer_load_dword v33, v2, s[8:11], 0 idxen                // 000000005A48: E0502000 80022102
	s_mov_b64 exec, s[84:85]                                   // 000000005A50: BEFE0154
	v_mov_b32_e32 v34, 0                                       // 000000005A54: 7E440280
	s_mov_b64 exec, s[86:87]                                   // 000000005A58: BEFE0156
	buffer_load_dword v34, v3, s[8:11], 0 idxen                // 000000005A5C: E0502000 80022203
	s_mov_b64 exec, s[84:85]                                   // 000000005A64: BEFE0154
	v_mov_b32_e32 v35, 0                                       // 000000005A68: 7E460280
	s_mov_b64 exec, s[86:87]                                   // 000000005A6C: BEFE0156
	buffer_load_dword v35, v4, s[8:11], 0 idxen                // 000000005A70: E0502000 80022304
	s_mov_b64 exec, s[84:85]                                   // 000000005A78: BEFE0154
	v_mov_b32_e32 v40, 0                                       // 000000005A7C: 7E500280
	s_mov_b64 exec, s[86:87]                                   // 000000005A80: BEFE0156
	buffer_load_dword v40, v248, s[20:23], 0 idxen             // 000000005A84: E0502000 800528F8
	s_mov_b64 exec, s[84:85]                                   // 000000005A8C: BEFE0154
	v_mov_b32_e32 v41, 0                                       // 000000005A90: 7E520280
	s_mov_b64 exec, s[86:87]                                   // 000000005A94: BEFE0156
	buffer_load_dword v41, v249, s[20:23], 0 idxen             // 000000005A98: E0502000 800529F9
	s_mov_b64 exec, s[84:85]                                   // 000000005AA0: BEFE0154
	v_mov_b32_e32 v42, 0                                       // 000000005AA4: 7E540280
	s_mov_b64 exec, s[86:87]                                   // 000000005AA8: BEFE0156
	buffer_load_dword v42, v250, s[20:23], 0 idxen             // 000000005AAC: E0502000 80052AFA
	s_mov_b64 exec, s[84:85]                                   // 000000005AB4: BEFE0154
	v_mov_b32_e32 v43, 0                                       // 000000005AB8: 7E560280
	s_mov_b64 exec, s[86:87]                                   // 000000005ABC: BEFE0156
	buffer_load_dword v43, v251, s[20:23], 0 idxen             // 000000005AC0: E0502000 80052BFB
	s_mov_b64 exec, s[84:85]                                   // 000000005AC8: BEFE0154
	s_waitcnt lgkmcnt(0)                                       // 000000005ACC: BF8CC07F
	s_barrier                                                  // 000000005AD0: BF8A0000
	ds_read_b128 a[96:99], v22                                 // 000000005AD4: DBFE0000 60000016
	ds_read_b128 a[100:103], v22 offset:512                    // 000000005ADC: DBFE0200 64000016
	ds_read_b128 a[104:107], v22 offset:2176                   // 000000005AE4: DBFE0880 68000016
	ds_read_b128 a[108:111], v22 offset:2688                   // 000000005AEC: DBFE0A80 6C000016
	v_add_u32_e32 v1, s68, v1                                  // 000000005AF4: 68020244
	v_add_u32_e32 v2, s68, v2                                  // 000000005AF8: 68040444
	v_add_u32_e32 v3, s68, v3                                  // 000000005AFC: 68060644
	v_add_u32_e32 v4, s68, v4                                  // 000000005B00: 68080844
	v_add_u32_e32 v248, s95, v248                              // 000000005B04: 69F1F05F
	v_add_u32_e32 v249, s95, v249                              // 000000005B08: 69F3F25F
	v_add_u32_e32 v250, s95, v250                              // 000000005B0C: 69F5F45F
	v_add_u32_e32 v251, s95, v251                              // 000000005B10: 69F7F65F
	s_waitcnt vmcnt(24) lgkmcnt(0)                             // 000000005B14: BF8C4078
	s_barrier                                                  // 000000005B18: BF8A0000
	s_cmp_lt_i32 1, s73                                        // 000000005B1C: BF044981
	s_cbranch_scc1 label_0759                                  // 000000005B20: BF850010
	v_mov_b32_e32 v168, 0                                      // 000000005B24: 7F500280
	v_mov_b32_e32 v169, 0                                      // 000000005B28: 7F520280
	v_mov_b32_e32 v170, 0                                      // 000000005B2C: 7F540280
	v_mov_b32_e32 v171, 0                                      // 000000005B30: 7F560280
	v_mov_b32_e32 v172, 0                                      // 000000005B34: 7F580280
	v_mov_b32_e32 v173, 0                                      // 000000005B38: 7F5A0280
	v_mov_b32_e32 v174, 0                                      // 000000005B3C: 7F5C0280
	v_mov_b32_e32 v175, 0                                      // 000000005B40: 7F5E0280
	v_mov_b32_e32 v176, 0                                      // 000000005B44: 7F600280
	v_mov_b32_e32 v177, 0                                      // 000000005B48: 7F620280
	v_mov_b32_e32 v178, 0                                      // 000000005B4C: 7F640280
	v_mov_b32_e32 v179, 0                                      // 000000005B50: 7F660280
	v_mov_b32_e32 v180, 0                                      // 000000005B54: 7F680280
	v_mov_b32_e32 v181, 0                                      // 000000005B58: 7F6A0280
	v_mov_b32_e32 v182, 0                                      // 000000005B5C: 7F6C0280
	v_mov_b32_e32 v183, 0                                      // 000000005B60: 7F6E0280

0000000000005b64 <label_0759>:
	ds_write_b32 v11, v168                                     // 000000005B64: D81A0000 0000A80B
	ds_write_b32 v11, v169 offset:1056                         // 000000005B6C: D81A0420 0000A90B
	ds_write_b32 v11, v170 offset:128                          // 000000005B74: D81A0080 0000AA0B
	ds_write_b32 v11, v171 offset:1184                         // 000000005B7C: D81A04A0 0000AB0B
	ds_write_b32 v11, v172 offset:4352                         // 000000005B84: D81A1100 0000AC0B
	ds_write_b32 v11, v173 offset:5408                         // 000000005B8C: D81A1520 0000AD0B
	ds_write_b32 v11, v174 offset:4480                         // 000000005B94: D81A1180 0000AE0B
	ds_write_b32 v11, v175 offset:5536                         // 000000005B9C: D81A15A0 0000AF0B
	ds_write_b32 v11, v176 offset:8704                         // 000000005BA4: D81A2200 0000B00B
	ds_write_b32 v11, v177 offset:9760                         // 000000005BAC: D81A2620 0000B10B
	ds_write_b32 v11, v178 offset:8832                         // 000000005BB4: D81A2280 0000B20B
	ds_write_b32 v11, v179 offset:9888                         // 000000005BBC: D81A26A0 0000B30B
	ds_write_b32 v11, v180 offset:13056                        // 000000005BC4: D81A3300 0000B40B
	ds_write_b32 v11, v181 offset:14112                        // 000000005BCC: D81A3720 0000B50B
	ds_write_b32 v11, v182 offset:13184                        // 000000005BD4: D81A3380 0000B60B
	ds_write_b32 v11, v183 offset:14240                        // 000000005BDC: D81A37A0 0000B70B
	v_mov_b32_e32 v36, 0                                       // 000000005BE4: 7E480280
	s_mov_b64 exec, s[86:87]                                   // 000000005BE8: BEFE0156
	buffer_load_dword v36, v1, s[8:11], 0 idxen                // 000000005BEC: E0502000 80022401
	s_mov_b64 exec, s[84:85]                                   // 000000005BF4: BEFE0154
	v_mov_b32_e32 v37, 0                                       // 000000005BF8: 7E4A0280
	s_mov_b64 exec, s[86:87]                                   // 000000005BFC: BEFE0156
	buffer_load_dword v37, v2, s[8:11], 0 idxen                // 000000005C00: E0502000 80022502
	s_mov_b64 exec, s[84:85]                                   // 000000005C08: BEFE0154
	v_mov_b32_e32 v38, 0                                       // 000000005C0C: 7E4C0280
	s_mov_b64 exec, s[86:87]                                   // 000000005C10: BEFE0156
	buffer_load_dword v38, v3, s[8:11], 0 idxen                // 000000005C14: E0502000 80022603
	s_mov_b64 exec, s[84:85]                                   // 000000005C1C: BEFE0154
	v_mov_b32_e32 v39, 0                                       // 000000005C20: 7E4E0280
	s_mov_b64 exec, s[86:87]                                   // 000000005C24: BEFE0156
	buffer_load_dword v39, v4, s[8:11], 0 idxen                // 000000005C28: E0502000 80022704
	s_mov_b64 exec, s[84:85]                                   // 000000005C30: BEFE0154
	v_mov_b32_e32 v44, 0                                       // 000000005C34: 7E580280
	s_mov_b64 exec, s[86:87]                                   // 000000005C38: BEFE0156
	buffer_load_dword v44, v248, s[20:23], 0 idxen             // 000000005C3C: E0502000 80052CF8
	s_mov_b64 exec, s[84:85]                                   // 000000005C44: BEFE0154
	v_mov_b32_e32 v45, 0                                       // 000000005C48: 7E5A0280
	s_mov_b64 exec, s[86:87]                                   // 000000005C4C: BEFE0156
	buffer_load_dword v45, v249, s[20:23], 0 idxen             // 000000005C50: E0502000 80052DF9
	s_mov_b64 exec, s[84:85]                                   // 000000005C58: BEFE0154
	v_mov_b32_e32 v46, 0                                       // 000000005C5C: 7E5C0280
	s_mov_b64 exec, s[86:87]                                   // 000000005C60: BEFE0156
	buffer_load_dword v46, v250, s[20:23], 0 idxen             // 000000005C64: E0502000 80052EFA
	s_mov_b64 exec, s[84:85]                                   // 000000005C6C: BEFE0154
	v_mov_b32_e32 v47, 0                                       // 000000005C70: 7E5E0280
	s_mov_b64 exec, s[86:87]                                   // 000000005C74: BEFE0156
	buffer_load_dword v47, v251, s[20:23], 0 idxen             // 000000005C78: E0502000 80052FFB
	s_mov_b64 exec, s[84:85]                                   // 000000005C80: BEFE0154
	s_waitcnt lgkmcnt(0)                                       // 000000005C84: BF8CC07F
	s_barrier                                                  // 000000005C88: BF8A0000
	ds_read_b128 a[112:115], v22                               // 000000005C8C: DBFE0000 70000016
	ds_read_b128 a[116:119], v22 offset:512                    // 000000005C94: DBFE0200 74000016
	ds_read_b128 a[120:123], v22 offset:2176                   // 000000005C9C: DBFE0880 78000016
	ds_read_b128 a[124:127], v22 offset:2688                   // 000000005CA4: DBFE0A80 7C000016
	v_add_u32_e32 v1, s68, v1                                  // 000000005CAC: 68020244
	v_add_u32_e32 v2, s68, v2                                  // 000000005CB0: 68040444
	v_add_u32_e32 v3, s68, v3                                  // 000000005CB4: 68060644
	v_add_u32_e32 v4, s68, v4                                  // 000000005CB8: 68080844
	v_add_u32_e32 v248, s95, v248                              // 000000005CBC: 69F1F05F
	v_add_u32_e32 v249, s95, v249                              // 000000005CC0: 69F3F25F
	v_add_u32_e32 v250, s95, v250                              // 000000005CC4: 69F5F45F
	v_add_u32_e32 v251, s95, v251                              // 000000005CC8: 69F7F65F
	s_waitcnt vmcnt(16) lgkmcnt(0)                             // 000000005CCC: BF8C4070
	s_barrier                                                  // 000000005CD0: BF8A0000
	s_cmp_lt_i32 2, s73                                        // 000000005CD4: BF044982
	s_cbranch_scc1 label_07C7                                  // 000000005CD8: BF850010
	v_mov_b32_e32 v184, 0                                      // 000000005CDC: 7F700280
	v_mov_b32_e32 v185, 0                                      // 000000005CE0: 7F720280
	v_mov_b32_e32 v186, 0                                      // 000000005CE4: 7F740280
	v_mov_b32_e32 v187, 0                                      // 000000005CE8: 7F760280
	v_mov_b32_e32 v188, 0                                      // 000000005CEC: 7F780280
	v_mov_b32_e32 v189, 0                                      // 000000005CF0: 7F7A0280
	v_mov_b32_e32 v190, 0                                      // 000000005CF4: 7F7C0280
	v_mov_b32_e32 v191, 0                                      // 000000005CF8: 7F7E0280
	v_mov_b32_e32 v192, 0                                      // 000000005CFC: 7F800280
	v_mov_b32_e32 v193, 0                                      // 000000005D00: 7F820280
	v_mov_b32_e32 v194, 0                                      // 000000005D04: 7F840280
	v_mov_b32_e32 v195, 0                                      // 000000005D08: 7F860280
	v_mov_b32_e32 v196, 0                                      // 000000005D0C: 7F880280
	v_mov_b32_e32 v197, 0                                      // 000000005D10: 7F8A0280
	v_mov_b32_e32 v198, 0                                      // 000000005D14: 7F8C0280
	v_mov_b32_e32 v199, 0                                      // 000000005D18: 7F8E0280

0000000000005d1c <label_07C7>:
	ds_write_b32 v11, v184                                     // 000000005D1C: D81A0000 0000B80B
	ds_write_b32 v11, v185 offset:1056                         // 000000005D24: D81A0420 0000B90B
	ds_write_b32 v11, v186 offset:128                          // 000000005D2C: D81A0080 0000BA0B
	ds_write_b32 v11, v187 offset:1184                         // 000000005D34: D81A04A0 0000BB0B
	ds_write_b32 v11, v188 offset:4352                         // 000000005D3C: D81A1100 0000BC0B
	ds_write_b32 v11, v189 offset:5408                         // 000000005D44: D81A1520 0000BD0B
	ds_write_b32 v11, v190 offset:4480                         // 000000005D4C: D81A1180 0000BE0B
	ds_write_b32 v11, v191 offset:5536                         // 000000005D54: D81A15A0 0000BF0B
	ds_write_b32 v11, v192 offset:8704                         // 000000005D5C: D81A2200 0000C00B
	ds_write_b32 v11, v193 offset:9760                         // 000000005D64: D81A2620 0000C10B
	ds_write_b32 v11, v194 offset:8832                         // 000000005D6C: D81A2280 0000C20B
	ds_write_b32 v11, v195 offset:9888                         // 000000005D74: D81A26A0 0000C30B
	ds_write_b32 v11, v196 offset:13056                        // 000000005D7C: D81A3300 0000C40B
	ds_write_b32 v11, v197 offset:14112                        // 000000005D84: D81A3720 0000C50B
	ds_write_b32 v11, v198 offset:13184                        // 000000005D8C: D81A3380 0000C60B
	ds_write_b32 v11, v199 offset:14240                        // 000000005D94: D81A37A0 0000C70B
	s_waitcnt lgkmcnt(0)                                       // 000000005D9C: BF8CC07F
	s_barrier                                                  // 000000005DA0: BF8A0000
	ds_read_b128 a[128:131], v22                               // 000000005DA4: DBFE0000 80000016
	ds_read_b128 a[132:135], v22 offset:512                    // 000000005DAC: DBFE0200 84000016
	ds_read_b128 a[136:139], v22 offset:2176                   // 000000005DB4: DBFE0880 88000016
	ds_read_b128 a[140:143], v22 offset:2688                   // 000000005DBC: DBFE0A80 8C000016
	s_waitcnt vmcnt(8) lgkmcnt(0)                              // 000000005DC4: BF8C0078
	s_barrier                                                  // 000000005DC8: BF8A0000
	buffer_load_dword v9, s[24:27], 0 idxen lds                // 000000005DCC: E0512000 80060009
	s_mov_b32 m0, s75                                          // 000000005DD4: BEFC004B
	v_add_u32_e32 v9, s69, v9                                  // 000000005DD8: 68121245
	v_perm_b32 v84, v33, v32, s63                              // 000000005DDC: D1ED0054 00FE4121
	v_perm_b32 v85, v33, v32, s64                              // 000000005DE4: D1ED0055 01024121
	v_perm_b32 v86, v35, v34, s63                              // 000000005DEC: D1ED0056 00FE4523
	v_perm_b32 v87, v35, v34, s64                              // 000000005DF4: D1ED0057 01024523
	ds_write_b32 v13, v84 offset:4352                          // 000000005DFC: D81A1100 0000540D
	ds_write_b32 v13, v85 offset:5408                          // 000000005E04: D81A1520 0000550D
	ds_write_b32 v13, v86 offset:4480                          // 000000005E0C: D81A1180 0000560D
	ds_write_b32 v13, v87 offset:5536                          // 000000005E14: D81A15A0 0000570D
	ds_write_b32 v11, v32                                      // 000000005E1C: D81A0000 0000200B
	ds_write_b32 v11, v33 offset:1056                          // 000000005E24: D81A0420 0000210B
	ds_write_b32 v11, v34 offset:128                           // 000000005E2C: D81A0080 0000220B
	ds_write_b32 v11, v35 offset:1184                          // 000000005E34: D81A04A0 0000230B
	buffer_load_dword v9, s[24:27], 0 idxen lds                // 000000005E3C: E0512000 80060009
	s_mov_b32 m0, s74                                          // 000000005E44: BEFC004A
	v_add_u32_e32 v9, s69, v9                                  // 000000005E48: 68121245
	v_perm_b32 v88, v41, v40, s63                              // 000000005E4C: D1ED0058 00FE5129
	v_perm_b32 v89, v41, v40, s64                              // 000000005E54: D1ED0059 01025129
	v_perm_b32 v90, v43, v42, s63                              // 000000005E5C: D1ED005A 00FE552B
	v_perm_b32 v91, v43, v42, s64                              // 000000005E64: D1ED005B 0102552B
	ds_write_b32 v13, v88 offset:13056                         // 000000005E6C: D81A3300 0000580D
	ds_write_b32 v13, v89 offset:14112                         // 000000005E74: D81A3720 0000590D
	ds_write_b32 v13, v90 offset:13184                         // 000000005E7C: D81A3380 00005A0D
	ds_write_b32 v13, v91 offset:14240                         // 000000005E84: D81A37A0 00005B0D
	ds_write_b32 v11, v40 offset:8704                          // 000000005E8C: D81A2200 0000280B
	ds_write_b32 v11, v41 offset:9760                          // 000000005E94: D81A2620 0000290B
	ds_write_b32 v11, v42 offset:8832                          // 000000005E9C: D81A2280 00002A0B
	ds_write_b32 v11, v43 offset:9888                          // 000000005EA4: D81A26A0 00002B0B
	s_waitcnt vmcnt(1) lgkmcnt(0)                              // 000000005EAC: BF8C0071
	s_barrier                                                  // 000000005EB0: BF8A0000
	ds_read_b128 a[144:147], v10                               // 000000005EB4: DBFE0000 9000000A
	ds_read_b128 a[148:151], v10 offset:512                    // 000000005EBC: DBFE0200 9400000A
	ds_read_b128 a[152:155], v10 offset:2176                   // 000000005EC4: DBFE0880 9800000A
	ds_read_b128 a[156:159], v10 offset:2688                   // 000000005ECC: DBFE0A80 9C00000A
	ds_read_b128 v[92:95], v10 offset:8704                     // 000000005ED4: D9FE2200 5C00000A
	ds_read_b128 v[96:99], v10 offset:9216                     // 000000005EDC: D9FE2400 6000000A
	ds_read_b128 v[100:103], v10 offset:10880                  // 000000005EE4: D9FE2A80 6400000A
	ds_read_b128 v[104:107], v10 offset:11392                  // 000000005EEC: D9FE2C80 6800000A
	ds_read_b32 v124, v21 offset:50688                         // 000000005EF4: D86CC600 7C000015
	ds_read_b32 v150, v21 offset:50944                         // 000000005EFC: D86CC700 96000015
	v_accvgpr_write_b32 a160, 0                                // 000000005F04: D3D940A0 18000080
	v_mov_b32_e32 v152, 0                                      // 000000005F0C: 7F300280
	v_accvgpr_write_b32 a161, 0                                // 000000005F10: D3D940A1 18000080
	v_mov_b32_e32 v153, 0                                      // 000000005F18: 7F320280
	v_accvgpr_write_b32 a162, 0                                // 000000005F1C: D3D940A2 18000080
	v_mov_b32_e32 v154, 0                                      // 000000005F24: 7F340280
	v_accvgpr_write_b32 a163, 0                                // 000000005F28: D3D940A3 18000080
	v_mov_b32_e32 v155, 0                                      // 000000005F30: 7F360280
	v_accvgpr_write_b32 a164, 0                                // 000000005F34: D3D940A4 18000080
	v_mov_b32_e32 v156, 0                                      // 000000005F3C: 7F380280
	v_accvgpr_write_b32 a165, 0                                // 000000005F40: D3D940A5 18000080
	v_mov_b32_e32 v157, 0                                      // 000000005F48: 7F3A0280
	v_accvgpr_write_b32 a166, 0                                // 000000005F4C: D3D940A6 18000080
	v_mov_b32_e32 v158, 0                                      // 000000005F54: 7F3C0280
	v_accvgpr_write_b32 a167, 0                                // 000000005F58: D3D940A7 18000080
	v_mov_b32_e32 v159, 0                                      // 000000005F60: 7F3E0280
	v_accvgpr_write_b32 a168, 0                                // 000000005F64: D3D940A8 18000080
	v_mov_b32_e32 v160, 0                                      // 000000005F6C: 7F400280
	v_accvgpr_write_b32 a169, 0                                // 000000005F70: D3D940A9 18000080
	v_mov_b32_e32 v161, 0                                      // 000000005F78: 7F420280
	v_accvgpr_write_b32 a170, 0                                // 000000005F7C: D3D940AA 18000080
	v_mov_b32_e32 v162, 0                                      // 000000005F84: 7F440280
	v_accvgpr_write_b32 a171, 0                                // 000000005F88: D3D940AB 18000080
	v_mov_b32_e32 v163, 0                                      // 000000005F90: 7F460280
	v_accvgpr_write_b32 a172, 0                                // 000000005F94: D3D940AC 18000080
	v_mov_b32_e32 v164, 0                                      // 000000005F9C: 7F480280
	v_accvgpr_write_b32 a173, 0                                // 000000005FA0: D3D940AD 18000080
	v_mov_b32_e32 v165, 0                                      // 000000005FA8: 7F4A0280
	v_accvgpr_write_b32 a174, 0                                // 000000005FAC: D3D940AE 18000080
	v_mov_b32_e32 v166, 0                                      // 000000005FB4: 7F4C0280
	v_accvgpr_write_b32 a175, 0                                // 000000005FB8: D3D940AF 18000080
	v_mov_b32_e32 v167, 0                                      // 000000005FC0: 7F4E0280
	v_accvgpr_write_b32 a176, 0                                // 000000005FC4: D3D940B0 18000080
	v_mov_b32_e32 v168, 0                                      // 000000005FCC: 7F500280
	v_accvgpr_write_b32 a177, 0                                // 000000005FD0: D3D940B1 18000080
	v_mov_b32_e32 v169, 0                                      // 000000005FD8: 7F520280
	v_accvgpr_write_b32 a178, 0                                // 000000005FDC: D3D940B2 18000080
	v_mov_b32_e32 v170, 0                                      // 000000005FE4: 7F540280
	v_accvgpr_write_b32 a179, 0                                // 000000005FE8: D3D940B3 18000080
	v_mov_b32_e32 v171, 0                                      // 000000005FF0: 7F560280
	v_accvgpr_write_b32 a180, 0                                // 000000005FF4: D3D940B4 18000080
	v_mov_b32_e32 v172, 0                                      // 000000005FFC: 7F580280
	v_accvgpr_write_b32 a181, 0                                // 000000006000: D3D940B5 18000080
	v_mov_b32_e32 v173, 0                                      // 000000006008: 7F5A0280
	v_accvgpr_write_b32 a182, 0                                // 00000000600C: D3D940B6 18000080
	v_mov_b32_e32 v174, 0                                      // 000000006014: 7F5C0280
	v_accvgpr_write_b32 a183, 0                                // 000000006018: D3D940B7 18000080
	v_mov_b32_e32 v175, 0                                      // 000000006020: 7F5E0280
	v_accvgpr_write_b32 a184, 0                                // 000000006024: D3D940B8 18000080
	v_mov_b32_e32 v176, 0                                      // 00000000602C: 7F600280
	v_accvgpr_write_b32 a185, 0                                // 000000006030: D3D940B9 18000080
	v_mov_b32_e32 v177, 0                                      // 000000006038: 7F620280
	v_accvgpr_write_b32 a186, 0                                // 00000000603C: D3D940BA 18000080
	v_mov_b32_e32 v178, 0                                      // 000000006044: 7F640280
	v_accvgpr_write_b32 a187, 0                                // 000000006048: D3D940BB 18000080
	v_mov_b32_e32 v179, 0                                      // 000000006050: 7F660280
	v_accvgpr_write_b32 a188, 0                                // 000000006054: D3D940BC 18000080
	v_mov_b32_e32 v180, 0                                      // 00000000605C: 7F680280
	v_accvgpr_write_b32 a189, 0                                // 000000006060: D3D940BD 18000080
	v_mov_b32_e32 v181, 0                                      // 000000006068: 7F6A0280
	v_accvgpr_write_b32 a190, 0                                // 00000000606C: D3D940BE 18000080
	v_mov_b32_e32 v182, 0                                      // 000000006074: 7F6C0280
	v_accvgpr_write_b32 a191, 0                                // 000000006078: D3D940BF 18000080
	v_mov_b32_e32 v183, 0                                      // 000000006080: 7F6E0280
	v_accvgpr_write_b32 a192, 0                                // 000000006084: D3D940C0 18000080
	v_mov_b32_e32 v184, 0                                      // 00000000608C: 7F700280
	v_accvgpr_write_b32 a193, 0                                // 000000006090: D3D940C1 18000080
	v_mov_b32_e32 v185, 0                                      // 000000006098: 7F720280
	v_accvgpr_write_b32 a194, 0                                // 00000000609C: D3D940C2 18000080
	v_mov_b32_e32 v186, 0                                      // 0000000060A4: 7F740280
	v_accvgpr_write_b32 a195, 0                                // 0000000060A8: D3D940C3 18000080
	v_mov_b32_e32 v187, 0                                      // 0000000060B0: 7F760280
	v_accvgpr_write_b32 a196, 0                                // 0000000060B4: D3D940C4 18000080
	v_mov_b32_e32 v188, 0                                      // 0000000060BC: 7F780280
	v_accvgpr_write_b32 a197, 0                                // 0000000060C0: D3D940C5 18000080
	v_mov_b32_e32 v189, 0                                      // 0000000060C8: 7F7A0280
	v_accvgpr_write_b32 a198, 0                                // 0000000060CC: D3D940C6 18000080
	v_mov_b32_e32 v190, 0                                      // 0000000060D4: 7F7C0280
	v_accvgpr_write_b32 a199, 0                                // 0000000060D8: D3D940C7 18000080
	v_mov_b32_e32 v191, 0                                      // 0000000060E0: 7F7E0280
	v_accvgpr_write_b32 a200, 0                                // 0000000060E4: D3D940C8 18000080
	v_mov_b32_e32 v192, 0                                      // 0000000060EC: 7F800280
	v_accvgpr_write_b32 a201, 0                                // 0000000060F0: D3D940C9 18000080
	v_mov_b32_e32 v193, 0                                      // 0000000060F8: 7F820280
	v_accvgpr_write_b32 a202, 0                                // 0000000060FC: D3D940CA 18000080
	v_mov_b32_e32 v194, 0                                      // 000000006104: 7F840280
	v_accvgpr_write_b32 a203, 0                                // 000000006108: D3D940CB 18000080
	v_mov_b32_e32 v195, 0                                      // 000000006110: 7F860280
	v_accvgpr_write_b32 a204, 0                                // 000000006114: D3D940CC 18000080
	v_mov_b32_e32 v196, 0                                      // 00000000611C: 7F880280
	v_accvgpr_write_b32 a205, 0                                // 000000006120: D3D940CD 18000080
	v_mov_b32_e32 v197, 0                                      // 000000006128: 7F8A0280
	v_accvgpr_write_b32 a206, 0                                // 00000000612C: D3D940CE 18000080
	v_mov_b32_e32 v198, 0                                      // 000000006134: 7F8C0280
	v_accvgpr_write_b32 a207, 0                                // 000000006138: D3D940CF 18000080
	v_mov_b32_e32 v199, 0                                      // 000000006140: 7F8E0280
	v_accvgpr_write_b32 a208, 0                                // 000000006144: D3D940D0 18000080
	v_mov_b32_e32 v200, 0                                      // 00000000614C: 7F900280
	v_accvgpr_write_b32 a209, 0                                // 000000006150: D3D940D1 18000080
	v_mov_b32_e32 v201, 0                                      // 000000006158: 7F920280
	v_accvgpr_write_b32 a210, 0                                // 00000000615C: D3D940D2 18000080
	v_mov_b32_e32 v202, 0                                      // 000000006164: 7F940280
	v_accvgpr_write_b32 a211, 0                                // 000000006168: D3D940D3 18000080
	v_mov_b32_e32 v203, 0                                      // 000000006170: 7F960280
	v_accvgpr_write_b32 a212, 0                                // 000000006174: D3D940D4 18000080
	v_mov_b32_e32 v204, 0                                      // 00000000617C: 7F980280
	v_accvgpr_write_b32 a213, 0                                // 000000006180: D3D940D5 18000080
	v_mov_b32_e32 v205, 0                                      // 000000006188: 7F9A0280
	v_accvgpr_write_b32 a214, 0                                // 00000000618C: D3D940D6 18000080
	v_mov_b32_e32 v206, 0                                      // 000000006194: 7F9C0280
	v_accvgpr_write_b32 a215, 0                                // 000000006198: D3D940D7 18000080
	v_mov_b32_e32 v207, 0                                      // 0000000061A0: 7F9E0280
	v_accvgpr_write_b32 a216, 0                                // 0000000061A4: D3D940D8 18000080
	v_mov_b32_e32 v208, 0                                      // 0000000061AC: 7FA00280
	v_accvgpr_write_b32 a217, 0                                // 0000000061B0: D3D940D9 18000080
	v_mov_b32_e32 v209, 0                                      // 0000000061B8: 7FA20280
	v_accvgpr_write_b32 a218, 0                                // 0000000061BC: D3D940DA 18000080
	v_mov_b32_e32 v210, 0                                      // 0000000061C4: 7FA40280
	v_accvgpr_write_b32 a219, 0                                // 0000000061C8: D3D940DB 18000080
	v_mov_b32_e32 v211, 0                                      // 0000000061D0: 7FA60280
	v_accvgpr_write_b32 a220, 0                                // 0000000061D4: D3D940DC 18000080
	v_mov_b32_e32 v212, 0                                      // 0000000061DC: 7FA80280
	v_accvgpr_write_b32 a221, 0                                // 0000000061E0: D3D940DD 18000080
	v_mov_b32_e32 v213, 0                                      // 0000000061E8: 7FAA0280
	v_accvgpr_write_b32 a222, 0                                // 0000000061EC: D3D940DE 18000080
	v_mov_b32_e32 v214, 0                                      // 0000000061F4: 7FAC0280
	v_accvgpr_write_b32 a223, 0                                // 0000000061F8: D3D940DF 18000080
	v_mov_b32_e32 v215, 0                                      // 000000006200: 7FAE0280
	v_accvgpr_write_b32 a224, 0                                // 000000006204: D3D940E0 18000080
	v_mov_b32_e32 v216, 0                                      // 00000000620C: 7FB00280
	v_accvgpr_write_b32 a225, 0                                // 000000006210: D3D940E1 18000080
	v_mov_b32_e32 v217, 0                                      // 000000006218: 7FB20280
	v_accvgpr_write_b32 a226, 0                                // 00000000621C: D3D940E2 18000080
	v_mov_b32_e32 v218, 0                                      // 000000006224: 7FB40280
	v_accvgpr_write_b32 a227, 0                                // 000000006228: D3D940E3 18000080
	v_mov_b32_e32 v219, 0                                      // 000000006230: 7FB60280
	v_accvgpr_write_b32 a228, 0                                // 000000006234: D3D940E4 18000080
	v_mov_b32_e32 v220, 0                                      // 00000000623C: 7FB80280
	v_accvgpr_write_b32 a229, 0                                // 000000006240: D3D940E5 18000080
	v_mov_b32_e32 v221, 0                                      // 000000006248: 7FBA0280
	v_accvgpr_write_b32 a230, 0                                // 00000000624C: D3D940E6 18000080
	v_mov_b32_e32 v222, 0                                      // 000000006254: 7FBC0280
	v_accvgpr_write_b32 a231, 0                                // 000000006258: D3D940E7 18000080
	v_mov_b32_e32 v223, 0                                      // 000000006260: 7FBE0280
	v_accvgpr_write_b32 a232, 0                                // 000000006264: D3D940E8 18000080
	v_mov_b32_e32 v224, 0                                      // 00000000626C: 7FC00280
	v_accvgpr_write_b32 a233, 0                                // 000000006270: D3D940E9 18000080
	v_mov_b32_e32 v225, 0                                      // 000000006278: 7FC20280
	v_accvgpr_write_b32 a234, 0                                // 00000000627C: D3D940EA 18000080
	v_mov_b32_e32 v226, 0                                      // 000000006284: 7FC40280
	v_accvgpr_write_b32 a235, 0                                // 000000006288: D3D940EB 18000080
	v_mov_b32_e32 v227, 0                                      // 000000006290: 7FC60280
	v_accvgpr_write_b32 a236, 0                                // 000000006294: D3D940EC 18000080
	v_mov_b32_e32 v228, 0                                      // 00000000629C: 7FC80280
	v_accvgpr_write_b32 a237, 0                                // 0000000062A0: D3D940ED 18000080
	v_mov_b32_e32 v229, 0                                      // 0000000062A8: 7FCA0280
	v_accvgpr_write_b32 a238, 0                                // 0000000062AC: D3D940EE 18000080
	v_mov_b32_e32 v230, 0                                      // 0000000062B4: 7FCC0280
	v_accvgpr_write_b32 a239, 0                                // 0000000062B8: D3D940EF 18000080
	v_mov_b32_e32 v231, 0                                      // 0000000062C0: 7FCE0280
	v_accvgpr_write_b32 a240, 0                                // 0000000062C4: D3D940F0 18000080
	v_mov_b32_e32 v232, 0                                      // 0000000062CC: 7FD00280
	v_accvgpr_write_b32 a241, 0                                // 0000000062D0: D3D940F1 18000080
	v_mov_b32_e32 v233, 0                                      // 0000000062D8: 7FD20280
	v_accvgpr_write_b32 a242, 0                                // 0000000062DC: D3D940F2 18000080
	v_mov_b32_e32 v234, 0                                      // 0000000062E4: 7FD40280
	v_accvgpr_write_b32 a243, 0                                // 0000000062E8: D3D940F3 18000080
	v_mov_b32_e32 v235, 0                                      // 0000000062F0: 7FD60280
	v_accvgpr_write_b32 a244, 0                                // 0000000062F4: D3D940F4 18000080
	v_mov_b32_e32 v236, 0                                      // 0000000062FC: 7FD80280
	v_accvgpr_write_b32 a245, 0                                // 000000006300: D3D940F5 18000080
	v_mov_b32_e32 v237, 0                                      // 000000006308: 7FDA0280
	v_accvgpr_write_b32 a246, 0                                // 00000000630C: D3D940F6 18000080
	v_mov_b32_e32 v238, 0                                      // 000000006314: 7FDC0280
	v_accvgpr_write_b32 a247, 0                                // 000000006318: D3D940F7 18000080
	v_mov_b32_e32 v239, 0                                      // 000000006320: 7FDE0280
	v_accvgpr_write_b32 a248, 0                                // 000000006324: D3D940F8 18000080
	v_mov_b32_e32 v240, 0                                      // 00000000632C: 7FE00280
	v_accvgpr_write_b32 a249, 0                                // 000000006330: D3D940F9 18000080
	v_mov_b32_e32 v241, 0                                      // 000000006338: 7FE20280
	v_accvgpr_write_b32 a250, 0                                // 00000000633C: D3D940FA 18000080
	v_mov_b32_e32 v242, 0                                      // 000000006344: 7FE40280
	v_accvgpr_write_b32 a251, 0                                // 000000006348: D3D940FB 18000080
	v_mov_b32_e32 v243, 0                                      // 000000006350: 7FE60280
	v_accvgpr_write_b32 a252, 0                                // 000000006354: D3D940FC 18000080
	v_mov_b32_e32 v244, 0                                      // 00000000635C: 7FE80280
	v_accvgpr_write_b32 a253, 0                                // 000000006360: D3D940FD 18000080
	v_mov_b32_e32 v245, 0                                      // 000000006368: 7FEA0280
	v_accvgpr_write_b32 a254, 0                                // 00000000636C: D3D940FE 18000080
	v_mov_b32_e32 v246, 0                                      // 000000006374: 7FEC0280
	v_accvgpr_write_b32 a255, 0                                // 000000006378: D3D940FF 18000080
	v_mov_b32_e32 v247, 0                                      // 000000006380: 7FEE0280
	v_mov_b32_e32 v136, 0                                      // 000000006384: 7F100280
	v_mov_b32_e32 v137, 0                                      // 000000006388: 7F120280
	v_mov_b32_e32 v138, 0                                      // 00000000638C: 7F140280
	v_mov_b32_e32 v139, 0                                      // 000000006390: 7F160280
	v_mov_b32_e32 v140, 0                                      // 000000006394: 7F180280
	v_mov_b32_e32 v141, 0                                      // 000000006398: 7F1A0280
	v_mov_b32_e32 v142, 0                                      // 00000000639C: 7F1C0280
	v_mov_b32_e32 v143, 0                                      // 0000000063A0: 7F1E0280
	v_mov_b32_e32 v128, 0                                      // 0000000063A4: 7F000280
	v_mov_b32_e32 v129, 0                                      // 0000000063A8: 7F020280
	v_mov_b32_e32 v130, 0                                      // 0000000063AC: 7F040280
	v_mov_b32_e32 v131, 0                                      // 0000000063B0: 7F060280
	v_mov_b32_e32 v132, 0                                      // 0000000063B4: 7F080280
	v_mov_b32_e32 v133, 0                                      // 0000000063B8: 7F0A0280
	v_mov_b32_e32 v134, 0                                      // 0000000063BC: 7F0C0280
	v_mov_b32_e32 v135, 0                                      // 0000000063C0: 7F0E0280
	s_waitcnt lgkmcnt(0)                                       // 0000000063C4: BF8CC07F
	s_barrier                                                  // 0000000063C8: BF8A0000
	v_mov_b32_e32 v32, 0                                       // 0000000063CC: 7E400280
	s_mov_b64 exec, s[86:87]                                   // 0000000063D0: BEFE0156
	buffer_load_dword v32, v1, s[8:11], 0 idxen                // 0000000063D4: E0502000 80022001
	s_mov_b64 exec, s[84:85]                                   // 0000000063DC: BEFE0154
	v_mov_b32_e32 v33, 0                                       // 0000000063E0: 7E420280
	s_mov_b64 exec, s[86:87]                                   // 0000000063E4: BEFE0156
	buffer_load_dword v33, v2, s[8:11], 0 idxen                // 0000000063E8: E0502000 80022102
	s_mov_b64 exec, s[84:85]                                   // 0000000063F0: BEFE0154
	v_mov_b32_e32 v34, 0                                       // 0000000063F4: 7E440280
	s_mov_b64 exec, s[86:87]                                   // 0000000063F8: BEFE0156
	buffer_load_dword v34, v3, s[8:11], 0 idxen                // 0000000063FC: E0502000 80022203
	s_mov_b64 exec, s[84:85]                                   // 000000006404: BEFE0154
	v_mov_b32_e32 v35, 0                                       // 000000006408: 7E460280
	s_mov_b64 exec, s[86:87]                                   // 00000000640C: BEFE0156
	buffer_load_dword v35, v4, s[8:11], 0 idxen                // 000000006410: E0502000 80022304
	s_mov_b64 exec, s[84:85]                                   // 000000006418: BEFE0154
	v_mov_b32_e32 v40, 0                                       // 00000000641C: 7E500280
	s_mov_b64 exec, s[86:87]                                   // 000000006420: BEFE0156
	buffer_load_dword v40, v248, s[20:23], 0 idxen             // 000000006424: E0502000 800528F8
	s_mov_b64 exec, s[84:85]                                   // 00000000642C: BEFE0154
	v_mov_b32_e32 v41, 0                                       // 000000006430: 7E520280
	s_mov_b64 exec, s[86:87]                                   // 000000006434: BEFE0156
	buffer_load_dword v41, v249, s[20:23], 0 idxen             // 000000006438: E0502000 800529F9
	s_mov_b64 exec, s[84:85]                                   // 000000006440: BEFE0154
	v_mov_b32_e32 v42, 0                                       // 000000006444: 7E540280
	s_mov_b64 exec, s[86:87]                                   // 000000006448: BEFE0156
	buffer_load_dword v42, v250, s[20:23], 0 idxen             // 00000000644C: E0502000 80052AFA
	s_mov_b64 exec, s[84:85]                                   // 000000006454: BEFE0154
	v_mov_b32_e32 v43, 0                                       // 000000006458: 7E560280
	s_mov_b64 exec, s[86:87]                                   // 00000000645C: BEFE0156
	buffer_load_dword v43, v251, s[20:23], 0 idxen             // 000000006460: E0502000 80052BFB
	s_mov_b64 exec, s[84:85]                                   // 000000006468: BEFE0154
	buffer_load_dword v9, s[24:27], 0 idxen lds                // 00000000646C: E0512000 80060009
	s_mov_b32 m0, s75                                          // 000000006474: BEFC004B
	v_add_u32_e32 v9, s69, v9                                  // 000000006478: 68121245
	v_add_u32_e32 v1, s68, v1                                  // 00000000647C: 68020244
	v_add_u32_e32 v2, s68, v2                                  // 000000006480: 68040444
	v_add_u32_e32 v3, s68, v3                                  // 000000006484: 68060644
	;; [unrolled: 1-line block ×3, first 2 shown]
	v_add_u32_e32 v248, s95, v248                              // 00000000648C: 69F1F05F
	v_add_u32_e32 v249, s95, v249                              // 000000006490: 69F3F25F
	v_add_u32_e32 v250, s95, v250                              // 000000006494: 69F5F45F
	v_add_u32_e32 v251, s95, v251                              // 000000006498: 69F7F65F
	v_cmp_eq_u32_e32 vcc, v124, v151                           // 00000000649C: 7D952F7C
	v_mov_b32_e32 v28, 0                                       // 0000000064A0: 7E380280
	v_cndmask_b32_e32 v124, v124, v28, vcc                     // 0000000064A4: 00F8397C
	v_mul_f32_e32 v124, s48, v124                              // 0000000064A8: 0AF8F830
	v_perm_b32 v84, v37, v36, s63                              // 0000000064AC: D1ED0054 00FE4925
	v_perm_b32 v85, v37, v36, s64                              // 0000000064B4: D1ED0055 01024925
	v_perm_b32 v86, v39, v38, s63                              // 0000000064BC: D1ED0056 00FE4D27
	v_perm_b32 v87, v39, v38, s64                              // 0000000064C4: D1ED0057 01024D27
	v_perm_b32 v88, v45, v44, s63                              // 0000000064CC: D1ED0058 00FE592D
	v_perm_b32 v89, v45, v44, s64                              // 0000000064D4: D1ED0059 0102592D
	v_perm_b32 v90, v47, v46, s63                              // 0000000064DC: D1ED005A 00FE5D2F
	v_perm_b32 v91, v47, v46, s64                              // 0000000064E4: D1ED005B 01025D2F
	v_mov_b32_dpp v127, v124 quad_perm:[3,3,3,3] row_mask:0xf bank_mask:0xf// 0000000064EC: 7EFE02FA FF00FF7C
	v_mov_b32_dpp v126, v124 quad_perm:[2,2,2,2] row_mask:0xf bank_mask:0xf// 0000000064F4: 7EFC02FA FF00AA7C
	v_mov_b32_dpp v125, v124 quad_perm:[1,1,1,1] row_mask:0xf bank_mask:0xf// 0000000064FC: 7EFA02FA FF00557C
	v_mov_b32_dpp v124, v124 quad_perm:[0,0,0,0] row_mask:0xf bank_mask:0xf// 000000006504: 7EF802FA FF00007C
	s_waitcnt vmcnt(9)                                         // 00000000650C: BF8C0F79
	s_barrier                                                  // 000000006510: BF8A0000
	s_cmp_lt_i32 s46, 2                                        // 000000006514: BF04822E
	s_cbranch_scc0 label_11AB                                  // 000000006518: BF8407D8
	s_nop 0                                                    // 00000000651C: BF800000
	s_nop 0                                                    // 000000006520: BF800000

0000000000006524 <label_09C9>:
	s_waitcnt lgkmcnt(0)                                       // 000000006524: BF8CC07F
	s_barrier                                                  // 000000006528: BF8A0000
	v_mfma_f32_16x16x16_f16 v[48:51], a[144:145], a[0:1], 0    // 00000000652C: D3CD0030 1A020190
	ds_write_b32 v11, v44 offset:8704                          // 000000006534: D81A2200 00002C0B
	ds_write_b32 v11, v45 offset:9760                          // 00000000653C: D81A2620 00002D0B
	v_mfma_f32_16x16x16_f16 v[48:51], a[146:147], a[2:3], v[48:51]// 000000006544: D3CD0030 1CC20592
	v_mul_f32_e32 v128, s47, v128                              // 00000000654C: 0B01002F
	v_mul_f32_e32 v129, s47, v129                              // 000000006550: 0B03022F
	v_mfma_f32_16x16x16_f16 v[48:51], a[148:149], a[4:5], v[48:51]// 000000006554: D3CD0030 1CC20994
	ds_write_b32 v11, v46 offset:8832                          // 00000000655C: D81A2280 00002E0B
	ds_write_b32 v11, v47 offset:9888                          // 000000006564: D81A26A0 00002F0B
	v_mfma_f32_16x16x16_f16 v[48:51], a[150:151], a[6:7], v[48:51]// 00000000656C: D3CD0030 1CC20D96
	v_mul_f32_e32 v130, s47, v130                              // 000000006574: 0B05042F
	v_mul_f32_e32 v131, s47, v131                              // 000000006578: 0B07062F
	v_mfma_f32_16x16x16_f16 v[48:51], a[152:153], a[8:9], v[48:51]// 00000000657C: D3CD0030 1CC21198
	ds_write_b64 v20, v[128:129] offset:24320                  // 000000006584: D89A5F00 00008014
	v_mfma_f32_16x16x16_f16 v[48:51], a[154:155], a[10:11], v[48:51]// 00000000658C: D3CD0030 1CC2159A
	v_mul_f32_e32 v132, s47, v132                              // 000000006594: 0B09082F
	v_mul_f32_e32 v133, s47, v133                              // 000000006598: 0B0B0A2F
	v_mfma_f32_16x16x16_f16 v[48:51], a[156:157], a[12:13], v[48:51]// 00000000659C: D3CD0030 1CC2199C
	ds_write_b64 v20, v[130:131] offset:24832                  // 0000000065A4: D89A6100 00008214
	v_mfma_f32_16x16x16_f16 v[48:51], a[158:159], a[14:15], v[48:51]// 0000000065AC: D3CD0030 1CC21D9E
	v_mul_f32_e32 v134, s47, v134                              // 0000000065B4: 0B0D0C2F
	v_mul_f32_e32 v135, s47, v135                              // 0000000065B8: 0B0F0E2F
	v_mfma_f32_16x16x16_f16 v[52:55], a[144:145], a[16:17], 0  // 0000000065BC: D3CD0034 1A022190
	ds_write_b64 v20, v[132:133] offset:25344                  // 0000000065C4: D89A6300 00008414
	v_mfma_f32_16x16x16_f16 v[52:55], a[146:147], a[18:19], v[52:55]// 0000000065CC: D3CD0034 1CD22592
	buffer_atomic_add_f32 v140, v7, s[32:35], 0 offen offset:256// 0000000065D4: E1341100 80088C07
	v_mfma_f32_16x16x16_f16 v[52:55], a[148:149], a[20:21], v[52:55]// 0000000065DC: D3CD0034 1CD22994
	ds_write_b64 v20, v[134:135] offset:25856                  // 0000000065E4: D89A6500 00008614
	v_mfma_f32_16x16x16_f16 v[52:55], a[150:151], a[22:23], v[52:55]// 0000000065EC: D3CD0034 1CD22D96
	v_mfma_f32_16x16x16_f16 v[52:55], a[152:153], a[24:25], v[52:55]// 0000000065F4: D3CD0034 1CD23198
	ds_read_b128 v[108:111], v12 offset:13056                  // 0000000065FC: D9FE3300 6C00000C
	ds_write_b32 v11, v36                                      // 000000006604: D81A0000 0000240B
	v_mfma_f32_16x16x16_f16 v[52:55], a[154:155], a[26:27], v[52:55]// 00000000660C: D3CD0034 1CD2359A
	buffer_atomic_add_f32 v141, v8, s[32:35], 0 offen offset:256// 000000006614: E1341100 80088D08
	v_mfma_f32_16x16x16_f16 v[52:55], a[156:157], a[28:29], v[52:55]// 00000000661C: D3CD0034 1CD2399C
	v_mfma_f32_16x16x16_f16 v[52:55], a[158:159], a[30:31], v[52:55]// 000000006624: D3CD0034 1CD23D9E
	ds_read_b128 v[112:115], v12 offset:13568                  // 00000000662C: D9FE3500 7000000C
	ds_write_b32 v11, v37 offset:1056                          // 000000006634: D81A0420 0000250B
	v_mfma_f32_16x16x16_f16 v[56:59], a[144:145], a[32:33], 0  // 00000000663C: D3CD0038 1A024190
	buffer_atomic_add_f32 v142, v7, s[32:35], 0 offen offset:384// 000000006644: E1341180 80088E07
	v_mfma_f32_16x16x16_f16 v[56:59], a[146:147], a[34:35], v[56:59]// 00000000664C: D3CD0038 1CE24592
	v_mfma_f32_16x16x16_f16 v[56:59], a[148:149], a[36:37], v[56:59]// 000000006654: D3CD0038 1CE24994
	ds_read_b128 v[116:119], v12 offset:15232                  // 00000000665C: D9FE3B80 7400000C
	ds_write_b32 v11, v38 offset:128                           // 000000006664: D81A0080 0000260B
	v_mfma_f32_16x16x16_f16 v[56:59], a[150:151], a[38:39], v[56:59]// 00000000666C: D3CD0038 1CE24D96
	v_mfma_f32_16x16x16_f16 v[56:59], a[152:153], a[40:41], v[56:59]// 000000006674: D3CD0038 1CE25198
	buffer_atomic_add_f32 v143, v8, s[32:35], 0 offen offset:384// 00000000667C: E1341180 80088F08
	v_mfma_f32_16x16x16_f16 v[56:59], a[154:155], a[42:43], v[56:59]// 000000006684: D3CD0038 1CE2559A
	ds_read_b128 v[120:123], v12 offset:15744                  // 00000000668C: D9FE3D80 7800000C
	ds_write_b32 v11, v39 offset:1184                          // 000000006694: D81A04A0 0000270B
	v_mfma_f32_16x16x16_f16 v[56:59], a[156:157], a[44:45], v[56:59]// 00000000669C: D3CD0038 1CE2599C
	v_mfma_f32_16x16x16_f16 v[56:59], a[158:159], a[46:47], v[56:59]// 0000000066A4: D3CD0038 1CE25D9E
	s_add_i32 s82, s59, s97                                    // 0000000066AC: 8152613B
	s_sub_i32 s82, s82, 1                                      // 0000000066B0: 81D28152
	s_add_i32 s81, s59, 16                                     // 0000000066B4: 8151903B
	s_sub_i32 s81, s81, s98                                    // 0000000066B8: 81D16251
	s_add_i32 s81, s81, 1                                      // 0000000066BC: 81518151
	s_branch label_0A31                                        // 0000000066C0: BF820000

00000000000066c4 <label_0A31>:
	s_add_i32 s62, 0, s46                                      // 0000000066C4: 813E2E80
	s_mul_i32 s62, s62, 16                                     // 0000000066C8: 923E903E
	s_add_i32 s62, s80, s62                                    // 0000000066CC: 813E3E50
	s_add_i32 s61, s62, 16                                     // 0000000066D0: 813D903E
	s_add_i32 s61, s61, 16                                     // 0000000066D4: 813D903D
	s_cmp_lt_i32 s61, s81                                      // 0000000066D8: BF04513D
	s_cselect_b32 s60, 1, 0                                    // 0000000066DC: 853C8081
	s_sub_i32 s62, s62, 16                                     // 0000000066E0: 81BE903E
	s_cmp_gt_i32 s62, s82                                      // 0000000066E4: BF02523E
	s_cselect_b32 s61, 1, 0                                    // 0000000066E8: 853D8081
	s_or_b32 s60, s60, s61                                     // 0000000066EC: 873C3D3C
	s_cmp_eq_i32 s60, 1                                        // 0000000066F0: BF00813C
	s_cbranch_scc1 label_0AC4                                  // 0000000066F4: BF850085
	s_add_i32 s61, s62, 32                                     // 0000000066F8: 813DA03E
	s_add_i32 s62, s62, 16                                     // 0000000066FC: 813E903E
	s_cmp_lt_i32 s62, s81                                      // 000000006700: BF04513E
	s_cselect_b32 s60, 1, 0                                    // 000000006704: 853C8081
	s_cmp_gt_i32 s61, s82                                      // 000000006708: BF02523D
	s_cselect_b32 s61, 1, 0                                    // 00000000670C: 853D8081
	s_or_b32 s60, s60, s61                                     // 000000006710: 873C3D3C
	s_cmp_eq_i32 s60, 1                                        // 000000006714: BF00813C
	s_cbranch_scc1 label_0A77                                  // 000000006718: BF85002F
	s_branch label_0A48                                        // 00000000671C: BF820000

0000000000006720 <label_0A48>:
	s_add_i32 s62, 4, s46                                      // 000000006720: 813E2E84
	s_mul_i32 s62, s62, 16                                     // 000000006724: 923E903E
	s_add_i32 s62, s80, s62                                    // 000000006728: 813E3E50
	s_add_i32 s61, s62, 16                                     // 00000000672C: 813D903E
	s_add_i32 s61, s61, 16                                     // 000000006730: 813D903D
	s_cmp_lt_i32 s61, s81                                      // 000000006734: BF04513D
	s_cselect_b32 s60, 1, 0                                    // 000000006738: 853C8081
	s_sub_i32 s62, s62, 16                                     // 00000000673C: 81BE903E
	s_cmp_gt_i32 s62, s82                                      // 000000006740: BF02523E
	s_cselect_b32 s61, 1, 0                                    // 000000006744: 853D8081
	s_or_b32 s60, s60, s61                                     // 000000006748: 873C3D3C
	s_cmp_eq_i32 s60, 1                                        // 00000000674C: BF00813C
	s_cbranch_scc1 label_0B16                                  // 000000006750: BF8500C0
	s_add_i32 s61, s62, 32                                     // 000000006754: 813DA03E
	s_add_i32 s62, s62, 16                                     // 000000006758: 813E903E
	s_cmp_lt_i32 s62, s81                                      // 00000000675C: BF04513E
	s_cselect_b32 s60, 1, 0                                    // 000000006760: 853C8081
	s_cmp_gt_i32 s61, s82                                      // 000000006764: BF02523D
	s_cselect_b32 s61, 1, 0                                    // 000000006768: 853D8081
	s_or_b32 s60, s60, s61                                     // 00000000676C: 873C3D3C
	s_cmp_eq_i32 s60, 1                                        // 000000006770: BF00813C
	s_cbranch_scc1 label_0AC9                                  // 000000006774: BF85006A
	s_branch label_0A5F                                        // 000000006778: BF820000

000000000000677c <label_0A5F>:
	s_add_i32 s62, 8, s46                                      // 00000000677C: 813E2E88
	s_mul_i32 s62, s62, 16                                     // 000000006780: 923E903E
	s_add_i32 s62, s80, s62                                    // 000000006784: 813E3E50
	s_add_i32 s61, s62, 16                                     // 000000006788: 813D903E
	s_add_i32 s61, s61, 16                                     // 00000000678C: 813D903D
	s_cmp_lt_i32 s61, s81                                      // 000000006790: BF04513D
	s_cselect_b32 s60, 1, 0                                    // 000000006794: 853C8081
	s_sub_i32 s62, s62, 16                                     // 000000006798: 81BE903E
	s_cmp_gt_i32 s62, s82                                      // 00000000679C: BF02523E
	s_cselect_b32 s61, 1, 0                                    // 0000000067A0: 853D8081
	s_or_b32 s60, s60, s61                                     // 0000000067A4: 873C3D3C
	s_cmp_eq_i32 s60, 1                                        // 0000000067A8: BF00813C
	s_cbranch_scc1 label_0B68                                  // 0000000067AC: BF8500FB
	s_add_i32 s61, s62, 32                                     // 0000000067B0: 813DA03E
	s_add_i32 s62, s62, 16                                     // 0000000067B4: 813E903E
	s_cmp_lt_i32 s62, s81                                      // 0000000067B8: BF04513E
	s_cselect_b32 s60, 1, 0                                    // 0000000067BC: 853C8081
	s_cmp_gt_i32 s61, s82                                      // 0000000067C0: BF02523D
	s_cselect_b32 s61, 1, 0                                    // 0000000067C4: 853D8081
	s_or_b32 s60, s60, s61                                     // 0000000067C8: 873C3D3C
	s_cmp_eq_i32 s60, 1                                        // 0000000067CC: BF00813C
	s_cbranch_scc1 label_0B1B                                  // 0000000067D0: BF8500A5
	s_branch label_0B6D                                        // 0000000067D4: BF8200F6

00000000000067d8 <label_0A77>:
	v_and_b32_e32 v28, 15, v0                                  // 0000000067D8: 2638008F
	v_add_u32_e32 v28, s62, v28                                // 0000000067DC: 6838383E
	v_lshrrev_b32_e32 v29, 4, v0                               // 0000000067E0: 203A0084
	v_lshlrev_b32_e32 v29, 2, v29                              // 0000000067E4: 243A3A82
	v_add_i32 v29, 0, v29                                      // 0000000067E8: D29C001D 00023A80
	v_add_i32 v29, s59, v29                                    // 0000000067F0: D29C001D 00023A3B
	v_sub_i32 v29, v29, v28                                    // 0000000067F8: D29D001D 0002391D
	v_cmp_ge_i32_e64 vcc, v29, s98                             // 000000006800: D0C6006A 0000C51D
	v_sub_i32 v29, 0, v29                                      // 000000006808: D29D001D 00023A80
	v_cndmask_b32_e32 v48, v48, v151, vcc                      // 000000006810: 00612F30
	v_cmp_ge_i32_e64 vcc, v29, s97                             // 000000006814: D0C6006A 0000C31D
	s_nop 1                                                    // 00000000681C: BF800001
	v_cndmask_b32_e32 v48, v48, v151, vcc                      // 000000006820: 00612F30
	v_and_b32_e32 v28, 15, v0                                  // 000000006824: 2638008F
	v_add_u32_e32 v28, s62, v28                                // 000000006828: 6838383E
	v_lshrrev_b32_e32 v29, 4, v0                               // 00000000682C: 203A0084
	v_lshlrev_b32_e32 v29, 2, v29                              // 000000006830: 243A3A82
	v_add_i32 v29, 1, v29                                      // 000000006834: D29C001D 00023A81
	v_add_i32 v29, s59, v29                                    // 00000000683C: D29C001D 00023A3B
	v_sub_i32 v29, v29, v28                                    // 000000006844: D29D001D 0002391D
	v_cmp_ge_i32_e64 vcc, v29, s98                             // 00000000684C: D0C6006A 0000C51D
	v_sub_i32 v29, 0, v29                                      // 000000006854: D29D001D 00023A80
	v_cndmask_b32_e32 v49, v49, v151, vcc                      // 00000000685C: 00632F31
	v_cmp_ge_i32_e64 vcc, v29, s97                             // 000000006860: D0C6006A 0000C31D
	s_nop 1                                                    // 000000006868: BF800001
	v_cndmask_b32_e32 v49, v49, v151, vcc                      // 00000000686C: 00632F31
	v_and_b32_e32 v28, 15, v0                                  // 000000006870: 2638008F
	v_add_u32_e32 v28, s62, v28                                // 000000006874: 6838383E
	v_lshrrev_b32_e32 v29, 4, v0                               // 000000006878: 203A0084
	v_lshlrev_b32_e32 v29, 2, v29                              // 00000000687C: 243A3A82
	v_add_i32 v29, 2, v29                                      // 000000006880: D29C001D 00023A82
	v_add_i32 v29, s59, v29                                    // 000000006888: D29C001D 00023A3B
	v_sub_i32 v29, v29, v28                                    // 000000006890: D29D001D 0002391D
	v_cmp_ge_i32_e64 vcc, v29, s98                             // 000000006898: D0C6006A 0000C51D
	v_sub_i32 v29, 0, v29                                      // 0000000068A0: D29D001D 00023A80
	v_cndmask_b32_e32 v50, v50, v151, vcc                      // 0000000068A8: 00652F32
	v_cmp_ge_i32_e64 vcc, v29, s97                             // 0000000068AC: D0C6006A 0000C31D
	s_nop 1                                                    // 0000000068B4: BF800001
	v_cndmask_b32_e32 v50, v50, v151, vcc                      // 0000000068B8: 00652F32
	v_and_b32_e32 v28, 15, v0                                  // 0000000068BC: 2638008F
	v_add_u32_e32 v28, s62, v28                                // 0000000068C0: 6838383E
	v_lshrrev_b32_e32 v29, 4, v0                               // 0000000068C4: 203A0084
	v_lshlrev_b32_e32 v29, 2, v29                              // 0000000068C8: 243A3A82
	v_add_i32 v29, 3, v29                                      // 0000000068CC: D29C001D 00023A83
	v_add_i32 v29, s59, v29                                    // 0000000068D4: D29C001D 00023A3B
	v_sub_i32 v29, v29, v28                                    // 0000000068DC: D29D001D 0002391D
	v_cmp_ge_i32_e64 vcc, v29, s98                             // 0000000068E4: D0C6006A 0000C51D
	v_sub_i32 v29, 0, v29                                      // 0000000068EC: D29D001D 00023A80
	v_cndmask_b32_e32 v51, v51, v151, vcc                      // 0000000068F4: 00672F33
	v_cmp_ge_i32_e64 vcc, v29, s97                             // 0000000068F8: D0C6006A 0000C31D
	s_nop 1                                                    // 000000006900: BF800001
	v_cndmask_b32_e32 v51, v51, v151, vcc                      // 000000006904: 00672F33
	s_branch label_0A48                                        // 000000006908: BF82FF85

000000000000690c <label_0AC4>:
	v_mov_b32_e32 v48, v151                                    // 00000000690C: 7E600397
	v_mov_b32_e32 v49, v151                                    // 000000006910: 7E620397
	v_mov_b32_e32 v50, v151                                    // 000000006914: 7E640397
	v_mov_b32_e32 v51, v151                                    // 000000006918: 7E660397
	s_branch label_0A48                                        // 00000000691C: BF82FF80

0000000000006920 <label_0AC9>:
	v_and_b32_e32 v28, 15, v0                                  // 000000006920: 2638008F
	v_add_u32_e32 v28, s62, v28                                // 000000006924: 6838383E
	v_lshrrev_b32_e32 v29, 4, v0                               // 000000006928: 203A0084
	v_lshlrev_b32_e32 v29, 2, v29                              // 00000000692C: 243A3A82
	v_add_i32 v29, 0, v29                                      // 000000006930: D29C001D 00023A80
	v_add_i32 v29, s59, v29                                    // 000000006938: D29C001D 00023A3B
	v_sub_i32 v29, v29, v28                                    // 000000006940: D29D001D 0002391D
	v_cmp_ge_i32_e64 vcc, v29, s98                             // 000000006948: D0C6006A 0000C51D
	v_sub_i32 v29, 0, v29                                      // 000000006950: D29D001D 00023A80
	v_cndmask_b32_e32 v52, v52, v151, vcc                      // 000000006958: 00692F34
	v_cmp_ge_i32_e64 vcc, v29, s97                             // 00000000695C: D0C6006A 0000C31D
	s_nop 1                                                    // 000000006964: BF800001
	v_cndmask_b32_e32 v52, v52, v151, vcc                      // 000000006968: 00692F34
	v_and_b32_e32 v28, 15, v0                                  // 00000000696C: 2638008F
	v_add_u32_e32 v28, s62, v28                                // 000000006970: 6838383E
	v_lshrrev_b32_e32 v29, 4, v0                               // 000000006974: 203A0084
	v_lshlrev_b32_e32 v29, 2, v29                              // 000000006978: 243A3A82
	v_add_i32 v29, 1, v29                                      // 00000000697C: D29C001D 00023A81
	v_add_i32 v29, s59, v29                                    // 000000006984: D29C001D 00023A3B
	v_sub_i32 v29, v29, v28                                    // 00000000698C: D29D001D 0002391D
	v_cmp_ge_i32_e64 vcc, v29, s98                             // 000000006994: D0C6006A 0000C51D
	v_sub_i32 v29, 0, v29                                      // 00000000699C: D29D001D 00023A80
	v_cndmask_b32_e32 v53, v53, v151, vcc                      // 0000000069A4: 006B2F35
	v_cmp_ge_i32_e64 vcc, v29, s97                             // 0000000069A8: D0C6006A 0000C31D
	s_nop 1                                                    // 0000000069B0: BF800001
	v_cndmask_b32_e32 v53, v53, v151, vcc                      // 0000000069B4: 006B2F35
	v_and_b32_e32 v28, 15, v0                                  // 0000000069B8: 2638008F
	v_add_u32_e32 v28, s62, v28                                // 0000000069BC: 6838383E
	v_lshrrev_b32_e32 v29, 4, v0                               // 0000000069C0: 203A0084
	v_lshlrev_b32_e32 v29, 2, v29                              // 0000000069C4: 243A3A82
	v_add_i32 v29, 2, v29                                      // 0000000069C8: D29C001D 00023A82
	v_add_i32 v29, s59, v29                                    // 0000000069D0: D29C001D 00023A3B
	v_sub_i32 v29, v29, v28                                    // 0000000069D8: D29D001D 0002391D
	v_cmp_ge_i32_e64 vcc, v29, s98                             // 0000000069E0: D0C6006A 0000C51D
	v_sub_i32 v29, 0, v29                                      // 0000000069E8: D29D001D 00023A80
	v_cndmask_b32_e32 v54, v54, v151, vcc                      // 0000000069F0: 006D2F36
	v_cmp_ge_i32_e64 vcc, v29, s97                             // 0000000069F4: D0C6006A 0000C31D
	s_nop 1                                                    // 0000000069FC: BF800001
	v_cndmask_b32_e32 v54, v54, v151, vcc                      // 000000006A00: 006D2F36
	v_and_b32_e32 v28, 15, v0                                  // 000000006A04: 2638008F
	v_add_u32_e32 v28, s62, v28                                // 000000006A08: 6838383E
	v_lshrrev_b32_e32 v29, 4, v0                               // 000000006A0C: 203A0084
	v_lshlrev_b32_e32 v29, 2, v29                              // 000000006A10: 243A3A82
	v_add_i32 v29, 3, v29                                      // 000000006A14: D29C001D 00023A83
	v_add_i32 v29, s59, v29                                    // 000000006A1C: D29C001D 00023A3B
	v_sub_i32 v29, v29, v28                                    // 000000006A24: D29D001D 0002391D
	v_cmp_ge_i32_e64 vcc, v29, s98                             // 000000006A2C: D0C6006A 0000C51D
	v_sub_i32 v29, 0, v29                                      // 000000006A34: D29D001D 00023A80
	v_cndmask_b32_e32 v55, v55, v151, vcc                      // 000000006A3C: 006F2F37
	v_cmp_ge_i32_e64 vcc, v29, s97                             // 000000006A40: D0C6006A 0000C31D
	s_nop 1                                                    // 000000006A48: BF800001
	v_cndmask_b32_e32 v55, v55, v151, vcc                      // 000000006A4C: 006F2F37
	s_branch label_0A5F                                        // 000000006A50: BF82FF4A

0000000000006a54 <label_0B16>:
	v_mov_b32_e32 v52, v151                                    // 000000006A54: 7E680397
	v_mov_b32_e32 v53, v151                                    // 000000006A58: 7E6A0397
	v_mov_b32_e32 v54, v151                                    // 000000006A5C: 7E6C0397
	v_mov_b32_e32 v55, v151                                    // 000000006A60: 7E6E0397
	s_branch label_0A5F                                        // 000000006A64: BF82FF45

0000000000006a68 <label_0B1B>:
	v_and_b32_e32 v28, 15, v0                                  // 000000006A68: 2638008F
	v_add_u32_e32 v28, s62, v28                                // 000000006A6C: 6838383E
	v_lshrrev_b32_e32 v29, 4, v0                               // 000000006A70: 203A0084
	v_lshlrev_b32_e32 v29, 2, v29                              // 000000006A74: 243A3A82
	v_add_i32 v29, 0, v29                                      // 000000006A78: D29C001D 00023A80
	v_add_i32 v29, s59, v29                                    // 000000006A80: D29C001D 00023A3B
	v_sub_i32 v29, v29, v28                                    // 000000006A88: D29D001D 0002391D
	v_cmp_ge_i32_e64 vcc, v29, s98                             // 000000006A90: D0C6006A 0000C51D
	v_sub_i32 v29, 0, v29                                      // 000000006A98: D29D001D 00023A80
	v_cndmask_b32_e32 v56, v56, v151, vcc                      // 000000006AA0: 00712F38
	v_cmp_ge_i32_e64 vcc, v29, s97                             // 000000006AA4: D0C6006A 0000C31D
	s_nop 1                                                    // 000000006AAC: BF800001
	v_cndmask_b32_e32 v56, v56, v151, vcc                      // 000000006AB0: 00712F38
	v_and_b32_e32 v28, 15, v0                                  // 000000006AB4: 2638008F
	v_add_u32_e32 v28, s62, v28                                // 000000006AB8: 6838383E
	v_lshrrev_b32_e32 v29, 4, v0                               // 000000006ABC: 203A0084
	v_lshlrev_b32_e32 v29, 2, v29                              // 000000006AC0: 243A3A82
	v_add_i32 v29, 1, v29                                      // 000000006AC4: D29C001D 00023A81
	v_add_i32 v29, s59, v29                                    // 000000006ACC: D29C001D 00023A3B
	v_sub_i32 v29, v29, v28                                    // 000000006AD4: D29D001D 0002391D
	v_cmp_ge_i32_e64 vcc, v29, s98                             // 000000006ADC: D0C6006A 0000C51D
	v_sub_i32 v29, 0, v29                                      // 000000006AE4: D29D001D 00023A80
	v_cndmask_b32_e32 v57, v57, v151, vcc                      // 000000006AEC: 00732F39
	v_cmp_ge_i32_e64 vcc, v29, s97                             // 000000006AF0: D0C6006A 0000C31D
	s_nop 1                                                    // 000000006AF8: BF800001
	v_cndmask_b32_e32 v57, v57, v151, vcc                      // 000000006AFC: 00732F39
	v_and_b32_e32 v28, 15, v0                                  // 000000006B00: 2638008F
	v_add_u32_e32 v28, s62, v28                                // 000000006B04: 6838383E
	v_lshrrev_b32_e32 v29, 4, v0                               // 000000006B08: 203A0084
	v_lshlrev_b32_e32 v29, 2, v29                              // 000000006B0C: 243A3A82
	v_add_i32 v29, 2, v29                                      // 000000006B10: D29C001D 00023A82
	v_add_i32 v29, s59, v29                                    // 000000006B18: D29C001D 00023A3B
	v_sub_i32 v29, v29, v28                                    // 000000006B20: D29D001D 0002391D
	v_cmp_ge_i32_e64 vcc, v29, s98                             // 000000006B28: D0C6006A 0000C51D
	v_sub_i32 v29, 0, v29                                      // 000000006B30: D29D001D 00023A80
	v_cndmask_b32_e32 v58, v58, v151, vcc                      // 000000006B38: 00752F3A
	v_cmp_ge_i32_e64 vcc, v29, s97                             // 000000006B3C: D0C6006A 0000C31D
	s_nop 1                                                    // 000000006B44: BF800001
	v_cndmask_b32_e32 v58, v58, v151, vcc                      // 000000006B48: 00752F3A
	v_and_b32_e32 v28, 15, v0                                  // 000000006B4C: 2638008F
	v_add_u32_e32 v28, s62, v28                                // 000000006B50: 6838383E
	v_lshrrev_b32_e32 v29, 4, v0                               // 000000006B54: 203A0084
	v_lshlrev_b32_e32 v29, 2, v29                              // 000000006B58: 243A3A82
	v_add_i32 v29, 3, v29                                      // 000000006B5C: D29C001D 00023A83
	v_add_i32 v29, s59, v29                                    // 000000006B64: D29C001D 00023A3B
	v_sub_i32 v29, v29, v28                                    // 000000006B6C: D29D001D 0002391D
	v_cmp_ge_i32_e64 vcc, v29, s98                             // 000000006B74: D0C6006A 0000C51D
	v_sub_i32 v29, 0, v29                                      // 000000006B7C: D29D001D 00023A80
	v_cndmask_b32_e32 v59, v59, v151, vcc                      // 000000006B84: 00772F3B
	v_cmp_ge_i32_e64 vcc, v29, s97                             // 000000006B88: D0C6006A 0000C31D
	s_nop 1                                                    // 000000006B90: BF800001
	v_cndmask_b32_e32 v59, v59, v151, vcc                      // 000000006B94: 00772F3B
	s_branch label_0B6D                                        // 000000006B98: BF820005

0000000000006b9c <label_0B68>:
	v_mov_b32_e32 v56, v151                                    // 000000006B9C: 7E700397
	v_mov_b32_e32 v57, v151                                    // 000000006BA0: 7E720397
	v_mov_b32_e32 v58, v151                                    // 000000006BA4: 7E740397
	v_mov_b32_e32 v59, v151                                    // 000000006BA8: 7E760397
	s_branch label_0B6D                                        // 000000006BAC: BF820000

0000000000006bb0 <label_0B6D>:
	s_cmp_lt_i32 s100, 0xc0                                    // 000000006BB0: BF04FF64 000000C0
	s_cbranch_scc0 label_0BC2                                  // 000000006BB8: BF84004D
	s_cmp_le_i32 s100, 64                                      // 000000006BBC: BF05C064
	s_cbranch_scc1 label_0B79                                  // 000000006BC0: BF850007
	s_cmp_le_i32 s100, 0x80                                    // 000000006BC4: BF05FF64 00000080
	s_cbranch_scc1 label_0B91                                  // 000000006BCC: BF850017
	s_cmp_lt_i32 s100, 0xc0                                    // 000000006BD0: BF04FF64 000000C0
	s_cbranch_scc1 label_0BA9                                  // 000000006BD8: BF85002C
	s_branch label_0BC2                                        // 000000006BDC: BF820044

0000000000006be0 <label_0B79>:
	s_mov_b32 s60, 0                                           // 000000006BE0: BEBC0080
	v_and_b32_e32 v28, 15, v0                                  // 000000006BE4: 2638008F
	v_add_u32_e64 v28, v28, s60                                // 000000006BE8: D134001C 0000791C
	v_mul_i32_i24_e64 v29, s46, 16                             // 000000006BF0: D106001D 0001202E
	v_add_u32_e32 v28, v28, v29                                // 000000006BF8: 68383B1C
	v_cmp_lt_u32_e64 s[60:61], v28, s100                       // 000000006BFC: D0C9003C 0000C91C
	s_nop 1                                                    // 000000006C04: BF800001
	v_cndmask_b32_e64 v48, v151, v48, s[60:61]                 // 000000006C08: D1000030 00F26197
	v_cndmask_b32_e64 v49, v151, v49, s[60:61]                 // 000000006C10: D1000031 00F26397
	v_cndmask_b32_e64 v50, v151, v50, s[60:61]                 // 000000006C18: D1000032 00F26597
	v_cndmask_b32_e64 v51, v151, v51, s[60:61]                 // 000000006C20: D1000033 00F26797
	s_branch label_0BA4                                        // 000000006C28: BF820013

0000000000006c2c <label_0B91>:
	s_mov_b32 s60, 64                                          // 000000006C2C: BEBC00C0
	v_and_b32_e32 v28, 15, v0                                  // 000000006C30: 2638008F
	v_add_u32_e64 v28, v28, s60                                // 000000006C34: D134001C 0000791C
	v_mul_i32_i24_e64 v29, s46, 16                             // 000000006C3C: D106001D 0001202E
	v_add_u32_e32 v28, v28, v29                                // 000000006C44: 68383B1C
	v_cmp_lt_u32_e64 s[60:61], v28, s100                       // 000000006C48: D0C9003C 0000C91C
	s_nop 1                                                    // 000000006C50: BF800001
	v_cndmask_b32_e64 v52, v151, v52, s[60:61]                 // 000000006C54: D1000034 00F26997
	v_cndmask_b32_e64 v53, v151, v53, s[60:61]                 // 000000006C5C: D1000035 00F26B97
	v_cndmask_b32_e64 v54, v151, v54, s[60:61]                 // 000000006C64: D1000036 00F26D97
	v_cndmask_b32_e64 v55, v151, v55, s[60:61]                 // 000000006C6C: D1000037 00F26F97
	s_branch label_0BBD                                        // 000000006C74: BF820019

0000000000006c78 <label_0BA4>:
	v_mov_b32_e32 v52, v151                                    // 000000006C78: 7E680397
	v_mov_b32_e32 v53, v151                                    // 000000006C7C: 7E6A0397
	v_mov_b32_e32 v54, v151                                    // 000000006C80: 7E6C0397
	v_mov_b32_e32 v55, v151                                    // 000000006C84: 7E6E0397
	s_branch label_0BBD                                        // 000000006C88: BF820014

0000000000006c8c <label_0BA9>:
	s_mov_b32 s60, 0x80                                        // 000000006C8C: BEBC00FF 00000080
	v_and_b32_e32 v28, 15, v0                                  // 000000006C94: 2638008F
	v_add_u32_e64 v28, v28, s60                                // 000000006C98: D134001C 0000791C
	v_mul_i32_i24_e64 v29, s46, 16                             // 000000006CA0: D106001D 0001202E
	v_add_u32_e32 v28, v28, v29                                // 000000006CA8: 68383B1C
	v_cmp_lt_u32_e64 s[60:61], v28, s100                       // 000000006CAC: D0C9003C 0000C91C
	s_nop 1                                                    // 000000006CB4: BF800001
	v_cndmask_b32_e64 v56, v151, v56, s[60:61]                 // 000000006CB8: D1000038 00F27197
	v_cndmask_b32_e64 v57, v151, v57, s[60:61]                 // 000000006CC0: D1000039 00F27397
	v_cndmask_b32_e64 v58, v151, v58, s[60:61]                 // 000000006CC8: D100003A 00F27597
	v_cndmask_b32_e64 v59, v151, v59, s[60:61]                 // 000000006CD0: D100003B 00F27797
	s_branch label_0BC2                                        // 000000006CD8: BF820005

0000000000006cdc <label_0BBD>:
	v_mov_b32_e32 v56, v151                                    // 000000006CDC: 7E700397
	v_mov_b32_e32 v57, v151                                    // 000000006CE0: 7E720397
	v_mov_b32_e32 v58, v151                                    // 000000006CE4: 7E740397
	v_mov_b32_e32 v59, v151                                    // 000000006CE8: 7E760397
	s_branch label_0BC2                                        // 000000006CEC: BF820000

0000000000006cf0 <label_0BC2>:
	s_waitcnt lgkmcnt(8)                                       // 000000006CF0: BF8CC87F
	s_barrier                                                  // 000000006CF4: BF8A0000
	v_mfma_f32_16x16x16_f16 v[72:75], v[92:93], a[96:97], 0    // 000000006CF8: D3CD0048 1202C15C
	ds_read_b128 a[144:147], v12 offset:4352                   // 000000006D00: DBFE1100 9000000C
	ds_read_b128 a[148:151], v12 offset:4864                   // 000000006D08: DBFE1300 9400000C
	v_mfma_f32_16x16x16_f16 v[72:75], v[94:95], a[98:99], v[72:75]// 000000006D10: D3CD0048 1522C55E
	v_fma_f32 v48, v48, s57, -v124                             // 000000006D18: D1CB0030 85F07330
	v_fma_f32 v49, v49, s57, -v125                             // 000000006D20: D1CB0031 85F47331
	v_fma_f32 v50, v50, s57, -v126                             // 000000006D28: D1CB0032 85F87332
	v_mfma_f32_16x16x16_f16 v[72:75], v[96:97], a[100:101], v[72:75]// 000000006D30: D3CD0048 1522C960
	v_fma_f32 v51, v51, s57, -v127                             // 000000006D38: D1CB0033 85FC7333
	v_fma_f32 v52, v52, s57, -v124                             // 000000006D40: D1CB0034 85F07334
	v_fma_f32 v53, v53, s57, -v125                             // 000000006D48: D1CB0035 85F47335
	v_mfma_f32_16x16x16_f16 v[72:75], v[98:99], a[102:103], v[72:75]// 000000006D50: D3CD0048 1522CD62
	v_fma_f32 v54, v54, s57, -v126                             // 000000006D58: D1CB0036 85F87336
	v_fma_f32 v55, v55, s57, -v127                             // 000000006D60: D1CB0037 85FC7337
	v_fma_f32 v56, v56, s57, -v124                             // 000000006D68: D1CB0038 85F07338
	v_mfma_f32_16x16x16_f16 v[72:75], v[100:101], a[104:105], v[72:75]// 000000006D70: D3CD0048 1522D164
	ds_read_b128 a[152:155], v12 offset:6528                   // 000000006D78: DBFE1980 9800000C
	ds_read_b128 a[156:159], v12 offset:7040                   // 000000006D80: DBFE1B80 9C00000C
	v_mfma_f32_16x16x16_f16 v[72:75], v[102:103], a[106:107], v[72:75]// 000000006D88: D3CD0048 1522D566
	v_fma_f32 v57, v57, s57, -v125                             // 000000006D90: D1CB0039 85F47339
	v_fma_f32 v58, v58, s57, -v126                             // 000000006D98: D1CB003A 85F8733A
	v_fma_f32 v59, v59, s57, -v127                             // 000000006DA0: D1CB003B 85FC733B
	v_mfma_f32_16x16x16_f16 v[72:75], v[104:105], a[108:109], v[72:75]// 000000006DA8: D3CD0048 1522D968
	v_exp_f32_e32 v48, v48                                     // 000000006DB0: 7E604130
	v_mfma_f32_16x16x16_f16 v[72:75], v[106:107], a[110:111], v[72:75]// 000000006DB4: D3CD0048 1522DD6A
	v_exp_f32_e32 v49, v49                                     // 000000006DBC: 7E624131
	v_mfma_f32_16x16x16_f16 v[76:79], v[92:93], a[112:113], 0  // 000000006DC0: D3CD004C 1202E15C
	ds_read_b64 v[136:137], v19 offset:24320                   // 000000006DC8: D8EC5F00 88000013
	ds_read_b64 v[138:139], v19 offset:26368                   // 000000006DD0: D8EC6700 8A000013
	v_mfma_f32_16x16x16_f16 v[76:79], v[94:95], a[114:115], v[76:79]// 000000006DD8: D3CD004C 1532E55E
	v_exp_f32_e32 v50, v50                                     // 000000006DE0: 7E644132
	v_mfma_f32_16x16x16_f16 v[76:79], v[96:97], a[116:117], v[76:79]// 000000006DE4: D3CD004C 1532E960
	ds_read_b64 v[140:141], v19 offset:28416                   // 000000006DEC: D8EC6F00 8C000013
	ds_read_b64 v[142:143], v19 offset:30464                   // 000000006DF4: D8EC7700 8E000013
	v_mfma_f32_16x16x16_f16 v[76:79], v[98:99], a[118:119], v[76:79]// 000000006DFC: D3CD004C 1532ED62
	v_exp_f32_e32 v51, v51                                     // 000000006E04: 7E664133
	v_mfma_f32_16x16x16_f16 v[76:79], v[100:101], a[120:121], v[76:79]// 000000006E08: D3CD004C 1532F164
	v_exp_f32_e32 v52, v52                                     // 000000006E10: 7E684134
	v_mfma_f32_16x16x16_f16 v[76:79], v[102:103], a[122:123], v[76:79]// 000000006E14: D3CD004C 1532F566
	v_exp_f32_e32 v53, v53                                     // 000000006E1C: 7E6A4135
	v_mfma_f32_16x16x16_f16 v[76:79], v[104:105], a[124:125], v[76:79]// 000000006E20: D3CD004C 1532F968
	v_exp_f32_e32 v54, v54                                     // 000000006E28: 7E6C4136
	v_mfma_f32_16x16x16_f16 v[76:79], v[106:107], a[126:127], v[76:79]// 000000006E2C: D3CD004C 1532FD6A
	v_exp_f32_e32 v55, v55                                     // 000000006E34: 7E6E4137
	v_mfma_f32_16x16x16_f16 v[80:83], v[92:93], a[128:129], 0  // 000000006E38: D3CD0050 1203015C
	v_exp_f32_e32 v56, v56                                     // 000000006E40: 7E704138
	v_mfma_f32_16x16x16_f16 v[80:83], v[94:95], a[130:131], v[80:83]// 000000006E44: D3CD0050 1543055E
	v_exp_f32_e32 v57, v57                                     // 000000006E4C: 7E724139
	v_mfma_f32_16x16x16_f16 v[80:83], v[96:97], a[132:133], v[80:83]// 000000006E50: D3CD0050 15430960
	v_exp_f32_e32 v58, v58                                     // 000000006E58: 7E74413A
	v_mfma_f32_16x16x16_f16 v[80:83], v[98:99], a[134:135], v[80:83]// 000000006E5C: D3CD0050 15430D62
	v_exp_f32_e32 v59, v59                                     // 000000006E64: 7E76413B
	v_mfma_f32_16x16x16_f16 v[80:83], v[100:101], a[136:137], v[80:83]// 000000006E68: D3CD0050 15431164
	v_cvt_pkrtz_f16_f32 v144, v48, v49                         // 000000006E70: D2960090 00026330
	v_cvt_pkrtz_f16_f32 v145, v50, v51                         // 000000006E78: D2960091 00026732
	v_cvt_pkrtz_f16_f32 v146, v52, v53                         // 000000006E80: D2960092 00026B34
	v_mfma_f32_16x16x16_f16 v[80:83], v[102:103], a[138:139], v[80:83]// 000000006E88: D3CD0050 15431566
	v_cvt_pkrtz_f16_f32 v147, v54, v55                         // 000000006E90: D2960093 00026F36
	v_cvt_pkrtz_f16_f32 v148, v56, v57                         // 000000006E98: D2960094 00027338
	v_cvt_pkrtz_f16_f32 v149, v58, v59                         // 000000006EA0: D2960095 0002773A
	v_mfma_f32_16x16x16_f16 v[80:83], v[104:105], a[140:141], v[80:83]// 000000006EA8: D3CD0050 15431968
	v_add_u32_e32 v7, s66, v7                                  // 000000006EB0: 680E0E42
	v_add_u32_e32 v8, s66, v8                                  // 000000006EB4: 68101042
	v_mfma_f32_16x16x16_f16 v[80:83], v[106:107], a[142:143], v[80:83]// 000000006EB8: D3CD0050 15431D6A
	s_waitcnt lgkmcnt(0)                                       // 000000006EC0: BF8CC07F
	s_barrier                                                  // 000000006EC4: BF8A0000
	v_mfma_f32_16x16x16_f16 v[152:155], v[108:109], v[144:145], v[152:155]// 000000006EC8: D3CD0098 0663216C
	v_subrev_f32_dpp v72, v150, v72 quad_perm:[0,0,0,0] row_mask:0xf bank_mask:0xf// 000000006ED0: 069090FA FF000096
	v_subrev_f32_dpp v73, v150, v73 quad_perm:[1,1,1,1] row_mask:0xf bank_mask:0xf// 000000006ED8: 069292FA FF005596
	v_subrev_f32_dpp v74, v150, v74 quad_perm:[2,2,2,2] row_mask:0xf bank_mask:0xf// 000000006EE0: 069494FA FF00AA96
	v_mfma_f32_16x16x16_f16 v[156:159], v[110:111], v[144:145], v[156:159]// 000000006EE8: D3CD009C 0673216E
	v_subrev_f32_dpp v75, v150, v75 quad_perm:[3,3,3,3] row_mask:0xf bank_mask:0xf// 000000006EF0: 069696FA FF00FF96
	v_subrev_f32_dpp v76, v150, v76 quad_perm:[0,0,0,0] row_mask:0xf bank_mask:0xf// 000000006EF8: 069898FA FF000096
	v_subrev_f32_dpp v77, v150, v77 quad_perm:[1,1,1,1] row_mask:0xf bank_mask:0xf// 000000006F00: 069A9AFA FF005596
	v_mfma_f32_16x16x16_f16 v[160:163], v[112:113], v[144:145], v[160:163]// 000000006F08: D3CD00A0 06832170
	v_mul_f32_e32 v72, v48, v72                                // 000000006F10: 0A909130
	v_mul_f32_e32 v73, v49, v73                                // 000000006F14: 0A929331
	v_mul_f32_e32 v74, v50, v74                                // 000000006F18: 0A949532
	v_mfma_f32_16x16x16_f16 v[164:167], v[114:115], v[144:145], v[164:167]// 000000006F1C: D3CD00A4 06932172
	v_mul_f32_e32 v75, v51, v75                                // 000000006F24: 0A969733
	v_mul_f32_e32 v76, v52, v76                                // 000000006F28: 0A989934
	v_mul_f32_e32 v77, v53, v77                                // 000000006F2C: 0A9A9B35
	v_mfma_f32_16x16x16_f16 v[168:171], v[116:117], v[144:145], v[168:171]// 000000006F30: D3CD00A8 06A32174
	v_cvt_pkrtz_f16_f32 v72, v72, v73                          // 000000006F38: D2960048 00029348
	v_cvt_pkrtz_f16_f32 v73, v74, v75                          // 000000006F40: D2960049 0002974A
	v_cvt_pkrtz_f16_f32 v74, v76, v77                          // 000000006F48: D296004A 00029B4C
	v_mfma_f32_16x16x16_f16 v[172:175], v[118:119], v[144:145], v[172:175]// 000000006F50: D3CD00AC 06B32176
	v_mov_b32_dpp v16, v72 quad_perm:[1,0,3,2] row_mask:0xf bank_mask:0xf// 000000006F58: 7E2002FA FF00B148
	v_perm_b32 v48, v16, v72, v15                              // 000000006F60: D1ED0030 043E9110
	v_mov_b32_dpp v16, v73 quad_perm:[1,0,3,2] row_mask:0xf bank_mask:0xf// 000000006F68: 7E2002FA FF00B149
	v_mfma_f32_16x16x16_f16 v[176:179], v[120:121], v[144:145], v[176:179]// 000000006F70: D3CD00B0 06C32178
	v_perm_b32 v49, v16, v73, v15                              // 000000006F78: D1ED0031 043E9310
	v_mov_b32_dpp v16, v74 quad_perm:[1,0,3,2] row_mask:0xf bank_mask:0xf// 000000006F80: 7E2002FA FF00B14A
	v_perm_b32 v50, v16, v74, v15                              // 000000006F88: D1ED0032 043E9510
	v_mfma_f32_16x16x16_f16 v[180:183], v[122:123], v[144:145], v[180:183]// 000000006F90: D3CD00B4 06D3217A
	ds_write_b32 v18, v48 offset:17408                         // 000000006F98: D81A4400 00003012
	v_mfma_f32_16x16x16_f16 v[184:187], v[108:109], v[146:147], v[184:187]// 000000006FA0: D3CD00B8 06E3256C
	v_subrev_f32_dpp v78, v150, v78 quad_perm:[2,2,2,2] row_mask:0xf bank_mask:0xf// 000000006FA8: 069C9CFA FF00AA96
	v_subrev_f32_dpp v79, v150, v79 quad_perm:[3,3,3,3] row_mask:0xf bank_mask:0xf// 000000006FB0: 069E9EFA FF00FF96
	v_subrev_f32_dpp v80, v150, v80 quad_perm:[0,0,0,0] row_mask:0xf bank_mask:0xf// 000000006FB8: 06A0A0FA FF000096
	v_mfma_f32_16x16x16_f16 v[188:191], v[110:111], v[146:147], v[188:191]// 000000006FC0: D3CD00BC 06F3256E
	ds_write_b32 v18, v49 offset:17952                         // 000000006FC8: D81A4620 00003112
	v_mfma_f32_16x16x16_f16 v[192:195], v[112:113], v[146:147], v[192:195]// 000000006FD0: D3CD00C0 07032570
	v_subrev_f32_dpp v81, v150, v81 quad_perm:[1,1,1,1] row_mask:0xf bank_mask:0xf// 000000006FD8: 06A2A2FA FF005596
	v_subrev_f32_dpp v82, v150, v82 quad_perm:[2,2,2,2] row_mask:0xf bank_mask:0xf// 000000006FE0: 06A4A4FA FF00AA96
	v_subrev_f32_dpp v83, v150, v83 quad_perm:[3,3,3,3] row_mask:0xf bank_mask:0xf// 000000006FE8: 06A6A6FA FF00FF96
	v_mfma_f32_16x16x16_f16 v[196:199], v[114:115], v[146:147], v[196:199]// 000000006FF0: D3CD00C4 07132572
	ds_write_b32 v18, v50 offset:19712                         // 000000006FF8: D81A4D00 00003212
	v_mfma_f32_16x16x16_f16 v[200:203], v[116:117], v[146:147], v[200:203]// 000000007000: D3CD00C8 07232574
	v_mul_f32_e32 v78, v54, v78                                // 000000007008: 0A9C9D36
	v_mul_f32_e32 v79, v55, v79                                // 00000000700C: 0A9E9F37
	v_mul_f32_e32 v80, v56, v80                                // 000000007010: 0AA0A138
	v_mfma_f32_16x16x16_f16 v[204:207], v[118:119], v[146:147], v[204:207]// 000000007014: D3CD00CC 07332576
	v_mul_f32_e32 v81, v57, v81                                // 00000000701C: 0AA2A339
	v_mul_f32_e32 v82, v58, v82                                // 000000007020: 0AA4A53A
	v_mul_f32_e32 v83, v59, v83                                // 000000007024: 0AA6A73B
	v_mfma_f32_16x16x16_f16 v[208:211], v[120:121], v[146:147], v[208:211]// 000000007028: D3CD00D0 07432578
	v_cvt_pkrtz_f16_f32 v75, v78, v79                          // 000000007030: D296004B 00029F4E
	v_cvt_pkrtz_f16_f32 v76, v80, v81                          // 000000007038: D296004C 0002A350
	v_cvt_pkrtz_f16_f32 v77, v82, v83                          // 000000007040: D296004D 0002A752
	v_mfma_f32_16x16x16_f16 v[212:215], v[122:123], v[146:147], v[212:215]// 000000007048: D3CD00D4 0753257A
	v_mov_b32_dpp v16, v75 quad_perm:[1,0,3,2] row_mask:0xf bank_mask:0xf// 000000007050: 7E2002FA FF00B14B
	v_perm_b32 v51, v16, v75, v15                              // 000000007058: D1ED0033 043E9710
	v_mov_b32_dpp v16, v76 quad_perm:[1,0,3,2] row_mask:0xf bank_mask:0xf// 000000007060: 7E2002FA FF00B14C
	v_mfma_f32_16x16x16_f16 v[216:219], v[108:109], v[148:149], v[216:219]// 000000007068: D3CD00D8 0763296C
	v_perm_b32 v52, v16, v76, v15                              // 000000007070: D1ED0034 043E9910
	v_mov_b32_dpp v16, v77 quad_perm:[1,0,3,2] row_mask:0xf bank_mask:0xf// 000000007078: 7E2002FA FF00B14D
	v_perm_b32 v53, v16, v77, v15                              // 000000007080: D1ED0035 043E9B10
	v_mfma_f32_16x16x16_f16 v[220:223], v[110:111], v[148:149], v[220:223]// 000000007088: D3CD00DC 0773296E
	ds_write_b32 v18, v51 offset:20256                         // 000000007090: D81A4F20 00003312
	v_mfma_f32_16x16x16_f16 v[224:227], v[112:113], v[148:149], v[224:227]// 000000007098: D3CD00E0 07832970
	v_mfma_f32_16x16x16_f16 v[228:231], v[114:115], v[148:149], v[228:231]// 0000000070A0: D3CD00E4 07932972
	ds_write_b32 v18, v52 offset:22016                         // 0000000070A8: D81A5600 00003412
	ds_write_b32 v18, v53 offset:22560                         // 0000000070B0: D81A5820 00003512
	v_mfma_f32_16x16x16_f16 v[232:235], v[116:117], v[148:149], v[232:235]// 0000000070B8: D3CD00E8 07A32974
	v_mfma_f32_16x16x16_f16 v[236:239], v[118:119], v[148:149], v[236:239]// 0000000070C0: D3CD00EC 07B32976
	ds_write_b32 v13, v84 offset:4352                          // 0000000070C8: D81A1100 0000540D
	ds_write_b32 v13, v85 offset:5408                          // 0000000070D0: D81A1520 0000550D
	v_mfma_f32_16x16x16_f16 v[240:243], v[120:121], v[148:149], v[240:243]// 0000000070D8: D3CD00F0 07C32978
	s_nop 0                                                    // 0000000070E0: BF800000
	s_nop 0                                                    // 0000000070E4: BF800000
	s_nop 0                                                    // 0000000070E8: BF800000
	v_mfma_f32_16x16x16_f16 v[244:247], v[122:123], v[148:149], v[244:247]// 0000000070EC: D3CD00F4 07D3297A
	ds_write_b32 v13, v86 offset:4480                          // 0000000070F4: D81A1180 0000560D
	ds_write_b32 v13, v87 offset:5536                          // 0000000070FC: D81A15A0 0000570D
	s_barrier                                                  // 000000007104: BF8A0000
	v_mfma_f32_16x16x16_f16 a[160:163], a[144:145], v[72:73], a[160:163]// 000000007108: D3CD80A0 0E829190
	buffer_atomic_add_f32 v136, v7, s[32:35], 0 offen          // 000000007110: E1341000 80088807
	v_mfma_f32_16x16x16_f16 a[164:167], a[146:147], v[72:73], a[164:167]// 000000007118: D3CD80A4 0E929192
	ds_read_b32 v124, v21 offset:51200                         // 000000007120: D86CC800 7C000015
	ds_read_b32 v150, v21 offset:51456                         // 000000007128: D86CC900 96000015
	v_mfma_f32_16x16x16_f16 a[168:171], a[148:149], v[72:73], a[168:171]// 000000007130: D3CD80A8 0EA29194
	s_waitcnt lgkmcnt(6)                                       // 000000007138: BF8CC67F
	s_barrier                                                  // 00000000713C: BF8A0000
	v_mfma_f32_16x16x16_f16 a[172:175], a[150:151], v[72:73], a[172:175]// 000000007140: D3CD80AC 0EB29196
	ds_read_b128 v[48:51], v17 offset:17408                    // 000000007148: D9FE4400 30000011
	v_mfma_f32_16x16x16_f16 a[176:179], a[152:153], v[72:73], a[176:179]// 000000007150: D3CD80B0 0EC29198
	v_mfma_f32_16x16x16_f16 a[180:183], a[154:155], v[72:73], a[180:183]// 000000007158: D3CD80B4 0ED2919A
	ds_read_b128 v[52:55], v17 offset:18560                    // 000000007160: D9FE4880 34000011
	v_mfma_f32_16x16x16_f16 a[184:187], a[156:157], v[72:73], a[184:187]// 000000007168: D3CD80B8 0EE2919C
	buffer_atomic_add_f32 v137, v8, s[32:35], 0 offen          // 000000007170: E1341000 80088908
	v_mfma_f32_16x16x16_f16 a[188:191], a[158:159], v[72:73], a[188:191]// 000000007178: D3CD80BC 0EF2919E
	ds_read_b128 v[56:59], v17 offset:19712                    // 000000007180: D9FE4D00 38000011
	v_mfma_f32_16x16x16_f16 a[192:195], a[144:145], v[74:75], a[192:195]// 000000007188: D3CD80C0 0F029590
	v_mfma_f32_16x16x16_f16 a[196:199], a[146:147], v[74:75], a[196:199]// 000000007190: D3CD80C4 0F129592
	ds_read_b128 v[60:63], v17 offset:20864                    // 000000007198: D9FE5180 3C000011
	v_mfma_f32_16x16x16_f16 a[200:203], a[148:149], v[74:75], a[200:203]// 0000000071A0: D3CD80C8 0F229594
	v_mfma_f32_16x16x16_f16 a[204:207], a[150:151], v[74:75], a[204:207]// 0000000071A8: D3CD80CC 0F329596
	ds_read_b128 v[64:67], v17 offset:22016                    // 0000000071B0: D9FE5600 40000011
	v_mfma_f32_16x16x16_f16 a[208:211], a[152:153], v[74:75], a[208:211]// 0000000071B8: D3CD80D0 0F429598
	buffer_atomic_add_f32 v138, v7, s[32:35], 0 offen offset:128// 0000000071C0: E1341080 80088A07
	v_mfma_f32_16x16x16_f16 a[212:215], a[154:155], v[74:75], a[212:215]// 0000000071C8: D3CD80D4 0F52959A
	ds_read_b128 v[68:71], v17 offset:23168                    // 0000000071D0: D9FE5A80 44000011
	v_mfma_f32_16x16x16_f16 a[216:219], a[156:157], v[74:75], a[216:219]// 0000000071D8: D3CD80D8 0F62959C
	v_mfma_f32_16x16x16_f16 a[220:223], a[158:159], v[74:75], a[220:223]// 0000000071E0: D3CD80DC 0F72959E
	ds_write_b32 v13, v88 offset:13056                         // 0000000071E8: D81A3300 0000580D
	v_mfma_f32_16x16x16_f16 a[224:227], a[144:145], v[76:77], a[224:227]// 0000000071F0: D3CD80E0 0F829990
	v_mfma_f32_16x16x16_f16 a[228:231], a[146:147], v[76:77], a[228:231]// 0000000071F8: D3CD80E4 0F929992
	ds_write_b32 v13, v89 offset:14112                         // 000000007200: D81A3720 0000590D
	v_mfma_f32_16x16x16_f16 a[232:235], a[148:149], v[76:77], a[232:235]// 000000007208: D3CD80E8 0FA29994
	buffer_atomic_add_f32 v139, v8, s[32:35], 0 offen offset:128// 000000007210: E1341080 80088B08
	v_mfma_f32_16x16x16_f16 a[236:239], a[150:151], v[76:77], a[236:239]// 000000007218: D3CD80EC 0FB29996
	ds_write_b32 v13, v90 offset:13184                         // 000000007220: D81A3380 00005A0D
	v_mfma_f32_16x16x16_f16 a[240:243], a[152:153], v[76:77], a[240:243]// 000000007228: D3CD80F0 0FC29998
	v_mfma_f32_16x16x16_f16 a[244:247], a[154:155], v[76:77], a[244:247]// 000000007230: D3CD80F4 0FD2999A
	ds_write_b32 v13, v91 offset:14240                         // 000000007238: D81A37A0 00005B0D
	v_mfma_f32_16x16x16_f16 a[248:251], a[156:157], v[76:77], a[248:251]// 000000007240: D3CD80F8 0FE2999C
	v_mfma_f32_16x16x16_f16 a[252:255], a[158:159], v[76:77], a[252:255]// 000000007248: D3CD80FC 0FF2999E
	s_waitcnt vmcnt(8) lgkmcnt(4)                              // 000000007250: BF8C0478
	s_barrier                                                  // 000000007254: BF8A0000
	v_mfma_f32_16x16x16_f16 v[128:131], v[48:49], a[48:49], 0  // 000000007258: D3CD0080 12026130
	v_cmp_eq_u32_e32 vcc, v124, v151                           // 000000007260: 7D952F7C
	v_mov_b32_e32 v28, 0                                       // 000000007264: 7E380280
	v_cndmask_b32_e32 v124, v124, v28, vcc                     // 000000007268: 00F8397C
	v_mul_f32_e32 v124, s48, v124                              // 00000000726C: 0AF8F830
	s_nop 0                                                    // 000000007270: BF800000
	v_mfma_f32_16x16x16_f16 v[128:131], v[50:51], a[52:53], v[128:131]// 000000007274: D3CD0080 16026932
	ds_read_b128 a[144:147], v10                               // 00000000727C: DBFE0000 9000000A
	v_mov_b32_e32 v36, 0                                       // 000000007284: 7E480280
	s_mov_b64 exec, s[86:87]                                   // 000000007288: BEFE0156
	buffer_load_dword v36, v1, s[8:11], 0 idxen                // 00000000728C: E0502000 80022401
	s_mov_b64 exec, s[84:85]                                   // 000000007294: BEFE0154
	v_mfma_f32_16x16x16_f16 v[128:131], v[52:53], a[56:57], v[128:131]// 000000007298: D3CD0080 16027134
	v_mfma_f32_16x16x16_f16 v[128:131], v[54:55], a[60:61], v[128:131]// 0000000072A0: D3CD0080 16027936
	ds_read_b128 a[148:151], v10 offset:512                    // 0000000072A8: DBFE0200 9400000A
	v_mov_b32_e32 v37, 0                                       // 0000000072B0: 7E4A0280
	s_mov_b64 exec, s[86:87]                                   // 0000000072B4: BEFE0156
	buffer_load_dword v37, v2, s[8:11], 0 idxen                // 0000000072B8: E0502000 80022502
	s_mov_b64 exec, s[84:85]                                   // 0000000072C0: BEFE0154
	v_mfma_f32_16x16x16_f16 v[128:131], v[56:57], a[64:65], v[128:131]// 0000000072C4: D3CD0080 16028138
	v_perm_b32 v84, v33, v32, s63                              // 0000000072CC: D1ED0054 00FE4121
	v_perm_b32 v85, v33, v32, s64                              // 0000000072D4: D1ED0055 01024121
	v_mfma_f32_16x16x16_f16 v[128:131], v[58:59], a[68:69], v[128:131]// 0000000072DC: D3CD0080 1602893A
	ds_read_b128 a[152:155], v10 offset:2176                   // 0000000072E4: DBFE0880 9800000A
	v_mov_b32_e32 v38, 0                                       // 0000000072EC: 7E4C0280
	s_mov_b64 exec, s[86:87]                                   // 0000000072F0: BEFE0156
	buffer_load_dword v38, v3, s[8:11], 0 idxen                // 0000000072F4: E0502000 80022603
	s_mov_b64 exec, s[84:85]                                   // 0000000072FC: BEFE0154
	v_mfma_f32_16x16x16_f16 v[128:131], v[60:61], a[72:73], v[128:131]// 000000007300: D3CD0080 1602913C
	v_perm_b32 v86, v35, v34, s63                              // 000000007308: D1ED0056 00FE4523
	v_perm_b32 v87, v35, v34, s64                              // 000000007310: D1ED0057 01024523
	v_mfma_f32_16x16x16_f16 v[128:131], v[62:63], a[76:77], v[128:131]// 000000007318: D3CD0080 1602993E
	ds_read_b128 a[156:159], v10 offset:2688                   // 000000007320: DBFE0A80 9C00000A
	v_mov_b32_e32 v39, 0                                       // 000000007328: 7E4E0280
	s_mov_b64 exec, s[86:87]                                   // 00000000732C: BEFE0156
	buffer_load_dword v39, v4, s[8:11], 0 idxen                // 000000007330: E0502000 80022704
	s_mov_b64 exec, s[84:85]                                   // 000000007338: BEFE0154
	v_mfma_f32_16x16x16_f16 v[128:131], v[64:65], a[80:81], v[128:131]// 00000000733C: D3CD0080 1602A140
	v_perm_b32 v88, v41, v40, s63                              // 000000007344: D1ED0058 00FE5129
	v_perm_b32 v89, v41, v40, s64                              // 00000000734C: D1ED0059 01025129
	v_mfma_f32_16x16x16_f16 v[128:131], v[66:67], a[84:85], v[128:131]// 000000007354: D3CD0080 1602A942
	ds_read_b128 v[92:95], v10 offset:8704                     // 00000000735C: D9FE2200 5C00000A
	v_mov_b32_e32 v44, 0                                       // 000000007364: 7E580280
	s_mov_b64 exec, s[86:87]                                   // 000000007368: BEFE0156
	buffer_load_dword v44, v248, s[20:23], 0 idxen             // 00000000736C: E0502000 80052CF8
	s_mov_b64 exec, s[84:85]                                   // 000000007374: BEFE0154
	v_mfma_f32_16x16x16_f16 v[128:131], v[68:69], a[88:89], v[128:131]// 000000007378: D3CD0080 1602B144
	v_perm_b32 v90, v43, v42, s63                              // 000000007380: D1ED005A 00FE552B
	v_perm_b32 v91, v43, v42, s64                              // 000000007388: D1ED005B 0102552B
	v_mfma_f32_16x16x16_f16 v[128:131], v[70:71], a[92:93], v[128:131]// 000000007390: D3CD0080 1602B946
	ds_read_b128 v[96:99], v10 offset:9216                     // 000000007398: D9FE2400 6000000A
	v_mov_b32_e32 v45, 0                                       // 0000000073A0: 7E5A0280
	s_mov_b64 exec, s[86:87]                                   // 0000000073A4: BEFE0156
	buffer_load_dword v45, v249, s[20:23], 0 idxen             // 0000000073A8: E0502000 80052DF9
	s_mov_b64 exec, s[84:85]                                   // 0000000073B0: BEFE0154
	v_mfma_f32_16x16x16_f16 v[132:135], v[48:49], a[50:51], 0  // 0000000073B4: D3CD0084 12026530
	v_mov_b32_dpp v127, v124 quad_perm:[3,3,3,3] row_mask:0xf bank_mask:0xf// 0000000073BC: 7EFE02FA FF00FF7C
	v_mov_b32_dpp v126, v124 quad_perm:[2,2,2,2] row_mask:0xf bank_mask:0xf// 0000000073C4: 7EFC02FA FF00AA7C
	v_mfma_f32_16x16x16_f16 v[132:135], v[50:51], a[54:55], v[132:135]// 0000000073CC: D3CD0084 16126D32
	ds_read_b128 v[100:103], v10 offset:10880                  // 0000000073D4: D9FE2A80 6400000A
	v_mov_b32_e32 v46, 0                                       // 0000000073DC: 7E5C0280
	s_mov_b64 exec, s[86:87]                                   // 0000000073E0: BEFE0156
	buffer_load_dword v46, v250, s[20:23], 0 idxen             // 0000000073E4: E0502000 80052EFA
	s_mov_b64 exec, s[84:85]                                   // 0000000073EC: BEFE0154
	v_mfma_f32_16x16x16_f16 v[132:135], v[52:53], a[58:59], v[132:135]// 0000000073F0: D3CD0084 16127534
	v_mov_b32_dpp v125, v124 quad_perm:[1,1,1,1] row_mask:0xf bank_mask:0xf// 0000000073F8: 7EFA02FA FF00557C
	v_mov_b32_dpp v124, v124 quad_perm:[0,0,0,0] row_mask:0xf bank_mask:0xf// 000000007400: 7EF802FA FF00007C
	s_add_u32 s60, 64, s59                                     // 000000007408: 803C3BC0
	v_mfma_f32_16x16x16_f16 v[132:135], v[54:55], a[62:63], v[132:135]// 00000000740C: D3CD0084 16127D36
	ds_read_b128 v[104:107], v10 offset:11392                  // 000000007414: D9FE2C80 6800000A
	v_mov_b32_e32 v47, 0                                       // 00000000741C: 7E5E0280
	s_mov_b64 exec, s[86:87]                                   // 000000007420: BEFE0156
	buffer_load_dword v47, v251, s[20:23], 0 idxen             // 000000007424: E0502000 80052FFB
	s_mov_b64 exec, s[84:85]                                   // 00000000742C: BEFE0154
	v_mfma_f32_16x16x16_f16 v[132:135], v[56:57], a[66:67], v[132:135]// 000000007430: D3CD0084 16128538
	s_cmp_lt_u32 s60, s58                                      // 000000007438: BF0A3A3C
	s_cselect_b32 s68, s68, 0                                  // 00000000743C: 85448044
	s_cselect_b32 s95, s95, 0                                  // 000000007440: 855F805F
	s_cselect_b32 s69, s69, 0                                  // 000000007444: 85458045
	v_mfma_f32_16x16x16_f16 v[132:135], v[58:59], a[70:71], v[132:135]// 000000007448: D3CD0084 16128D3A
	buffer_load_dword v9, s[24:27], 0 idxen lds                // 000000007450: E0512000 80060009
	v_mfma_f32_16x16x16_f16 v[132:135], v[60:61], a[74:75], v[132:135]// 000000007458: D3CD0084 1612953C
	v_add_u32_e32 v1, s68, v1                                  // 000000007460: 68020244
	v_add_u32_e32 v2, s68, v2                                  // 000000007464: 68040444
	;; [unrolled: 1-line block ×3, first 2 shown]
	v_add_u32_e32 v4, s68, v4                                  // 00000000746C: 68080844
	v_mfma_f32_16x16x16_f16 v[132:135], v[62:63], a[78:79], v[132:135]// 000000007470: D3CD0084 16129D3E
	v_add_u32_e32 v248, s95, v248                              // 000000007478: 69F1F05F
	v_add_u32_e32 v249, s95, v249                              // 00000000747C: 69F3F25F
	v_add_u32_e32 v250, s95, v250                              // 000000007480: 69F5F45F
	v_add_u32_e32 v251, s95, v251                              // 000000007484: 69F7F65F
	v_mfma_f32_16x16x16_f16 v[132:135], v[64:65], a[82:83], v[132:135]// 000000007488: D3CD0084 1612A540
	s_mov_b32 m0, s74                                          // 000000007490: BEFC004A
	v_add_u32_e32 v9, s69, v9                                  // 000000007494: 68121245
	v_mfma_f32_16x16x16_f16 v[132:135], v[66:67], a[86:87], v[132:135]// 000000007498: D3CD0084 1612AD42
	s_cmp_ge_u32 s59, s99                                      // 0000000074A0: BF09633B
	s_cselect_b32 s66, s67, s66                                // 0000000074A4: 85424243
	v_mfma_f32_16x16x16_f16 v[132:135], v[68:69], a[90:91], v[132:135]// 0000000074A8: D3CD0084 1612B544
	s_addk_i32 s59, 0x10                                       // 0000000074B0: B73B0010
	s_nop 0                                                    // 0000000074B4: BF800000
	s_cmp_lt_i32 s59, s58                                      // 0000000074B8: BF043A3B
	v_mfma_f32_16x16x16_f16 v[132:135], v[70:71], a[94:95], v[132:135]// 0000000074BC: D3CD0084 1612BD46
	s_cbranch_scc0 label_11A8                                  // 0000000074C4: BF8403EA
	s_waitcnt lgkmcnt(0)                                       // 0000000074C8: BF8CC07F
	s_barrier                                                  // 0000000074CC: BF8A0000
	v_mfma_f32_16x16x16_f16 v[48:51], a[144:145], a[0:1], 0    // 0000000074D0: D3CD0030 1A020190
	ds_write_b32 v11, v40 offset:8704                          // 0000000074D8: D81A2200 0000280B
	ds_write_b32 v11, v41 offset:9760                          // 0000000074E0: D81A2620 0000290B
	v_mfma_f32_16x16x16_f16 v[48:51], a[146:147], a[2:3], v[48:51]// 0000000074E8: D3CD0030 1CC20592
	v_mul_f32_e32 v128, s47, v128                              // 0000000074F0: 0B01002F
	v_mul_f32_e32 v129, s47, v129                              // 0000000074F4: 0B03022F
	v_mfma_f32_16x16x16_f16 v[48:51], a[148:149], a[4:5], v[48:51]// 0000000074F8: D3CD0030 1CC20994
	ds_write_b32 v11, v42 offset:8832                          // 000000007500: D81A2280 00002A0B
	ds_write_b32 v11, v43 offset:9888                          // 000000007508: D81A26A0 00002B0B
	v_mfma_f32_16x16x16_f16 v[48:51], a[150:151], a[6:7], v[48:51]// 000000007510: D3CD0030 1CC20D96
	v_mul_f32_e32 v130, s47, v130                              // 000000007518: 0B05042F
	v_mul_f32_e32 v131, s47, v131                              // 00000000751C: 0B07062F
	v_mfma_f32_16x16x16_f16 v[48:51], a[152:153], a[8:9], v[48:51]// 000000007520: D3CD0030 1CC21198
	ds_write_b64 v20, v[128:129] offset:24320                  // 000000007528: D89A5F00 00008014
	v_mfma_f32_16x16x16_f16 v[48:51], a[154:155], a[10:11], v[48:51]// 000000007530: D3CD0030 1CC2159A
	v_mul_f32_e32 v132, s47, v132                              // 000000007538: 0B09082F
	v_mul_f32_e32 v133, s47, v133                              // 00000000753C: 0B0B0A2F
	v_mfma_f32_16x16x16_f16 v[48:51], a[156:157], a[12:13], v[48:51]// 000000007540: D3CD0030 1CC2199C
	ds_write_b64 v20, v[130:131] offset:24832                  // 000000007548: D89A6100 00008214
	v_mfma_f32_16x16x16_f16 v[48:51], a[158:159], a[14:15], v[48:51]// 000000007550: D3CD0030 1CC21D9E
	v_mul_f32_e32 v134, s47, v134                              // 000000007558: 0B0D0C2F
	v_mul_f32_e32 v135, s47, v135                              // 00000000755C: 0B0F0E2F
	v_mfma_f32_16x16x16_f16 v[52:55], a[144:145], a[16:17], 0  // 000000007560: D3CD0034 1A022190
	ds_write_b64 v20, v[132:133] offset:25344                  // 000000007568: D89A6300 00008414
	v_mfma_f32_16x16x16_f16 v[52:55], a[146:147], a[18:19], v[52:55]// 000000007570: D3CD0034 1CD22592
	buffer_atomic_add_f32 v140, v7, s[32:35], 0 offen offset:256// 000000007578: E1341100 80088C07
	v_mfma_f32_16x16x16_f16 v[52:55], a[148:149], a[20:21], v[52:55]// 000000007580: D3CD0034 1CD22994
	ds_write_b64 v20, v[134:135] offset:25856                  // 000000007588: D89A6500 00008614
	v_mfma_f32_16x16x16_f16 v[52:55], a[150:151], a[22:23], v[52:55]// 000000007590: D3CD0034 1CD22D96
	v_mfma_f32_16x16x16_f16 v[52:55], a[152:153], a[24:25], v[52:55]// 000000007598: D3CD0034 1CD23198
	ds_read_b128 v[108:111], v12 offset:13056                  // 0000000075A0: D9FE3300 6C00000C
	ds_write_b32 v11, v32                                      // 0000000075A8: D81A0000 0000200B
	v_mfma_f32_16x16x16_f16 v[52:55], a[154:155], a[26:27], v[52:55]// 0000000075B0: D3CD0034 1CD2359A
	buffer_atomic_add_f32 v141, v8, s[32:35], 0 offen offset:256// 0000000075B8: E1341100 80088D08
	v_mfma_f32_16x16x16_f16 v[52:55], a[156:157], a[28:29], v[52:55]// 0000000075C0: D3CD0034 1CD2399C
	v_mfma_f32_16x16x16_f16 v[52:55], a[158:159], a[30:31], v[52:55]// 0000000075C8: D3CD0034 1CD23D9E
	ds_read_b128 v[112:115], v12 offset:13568                  // 0000000075D0: D9FE3500 7000000C
	ds_write_b32 v11, v33 offset:1056                          // 0000000075D8: D81A0420 0000210B
	v_mfma_f32_16x16x16_f16 v[56:59], a[144:145], a[32:33], 0  // 0000000075E0: D3CD0038 1A024190
	buffer_atomic_add_f32 v142, v7, s[32:35], 0 offen offset:384// 0000000075E8: E1341180 80088E07
	v_mfma_f32_16x16x16_f16 v[56:59], a[146:147], a[34:35], v[56:59]// 0000000075F0: D3CD0038 1CE24592
	v_mfma_f32_16x16x16_f16 v[56:59], a[148:149], a[36:37], v[56:59]// 0000000075F8: D3CD0038 1CE24994
	ds_read_b128 v[116:119], v12 offset:15232                  // 000000007600: D9FE3B80 7400000C
	ds_write_b32 v11, v34 offset:128                           // 000000007608: D81A0080 0000220B
	v_mfma_f32_16x16x16_f16 v[56:59], a[150:151], a[38:39], v[56:59]// 000000007610: D3CD0038 1CE24D96
	v_mfma_f32_16x16x16_f16 v[56:59], a[152:153], a[40:41], v[56:59]// 000000007618: D3CD0038 1CE25198
	buffer_atomic_add_f32 v143, v8, s[32:35], 0 offen offset:384// 000000007620: E1341180 80088F08
	v_mfma_f32_16x16x16_f16 v[56:59], a[154:155], a[42:43], v[56:59]// 000000007628: D3CD0038 1CE2559A
	ds_read_b128 v[120:123], v12 offset:15744                  // 000000007630: D9FE3D80 7800000C
	ds_write_b32 v11, v35 offset:1184                          // 000000007638: D81A04A0 0000230B
	v_mfma_f32_16x16x16_f16 v[56:59], a[156:157], a[44:45], v[56:59]// 000000007640: D3CD0038 1CE2599C
	v_mfma_f32_16x16x16_f16 v[56:59], a[158:159], a[46:47], v[56:59]// 000000007648: D3CD0038 1CE25D9E
	s_add_i32 s82, s59, s97                                    // 000000007650: 8152613B
	s_sub_i32 s82, s82, 1                                      // 000000007654: 81D28152
	s_add_i32 s81, s59, 16                                     // 000000007658: 8151903B
	s_sub_i32 s81, s81, s98                                    // 00000000765C: 81D16251
	s_add_i32 s81, s81, 1                                      // 000000007660: 81518151
	s_branch label_0E20                                        // 000000007664: BF820000

0000000000007668 <label_0E20>:
	s_add_i32 s62, 0, s46                                      // 000000007668: 813E2E80
	s_mul_i32 s62, s62, 16                                     // 00000000766C: 923E903E
	s_add_i32 s62, s80, s62                                    // 000000007670: 813E3E50
	s_add_i32 s61, s62, 16                                     // 000000007674: 813D903E
	s_add_i32 s61, s61, 16                                     // 000000007678: 813D903D
	s_cmp_lt_i32 s61, s81                                      // 00000000767C: BF04513D
	s_cselect_b32 s60, 1, 0                                    // 000000007680: 853C8081
	s_sub_i32 s62, s62, 16                                     // 000000007684: 81BE903E
	s_cmp_gt_i32 s62, s82                                      // 000000007688: BF02523E
	s_cselect_b32 s61, 1, 0                                    // 00000000768C: 853D8081
	s_or_b32 s60, s60, s61                                     // 000000007690: 873C3D3C
	s_cmp_eq_i32 s60, 1                                        // 000000007694: BF00813C
	s_cbranch_scc1 label_0EB3                                  // 000000007698: BF850085
	s_add_i32 s61, s62, 32                                     // 00000000769C: 813DA03E
	s_add_i32 s62, s62, 16                                     // 0000000076A0: 813E903E
	s_cmp_lt_i32 s62, s81                                      // 0000000076A4: BF04513E
	s_cselect_b32 s60, 1, 0                                    // 0000000076A8: 853C8081
	s_cmp_gt_i32 s61, s82                                      // 0000000076AC: BF02523D
	s_cselect_b32 s61, 1, 0                                    // 0000000076B0: 853D8081
	s_or_b32 s60, s60, s61                                     // 0000000076B4: 873C3D3C
	s_cmp_eq_i32 s60, 1                                        // 0000000076B8: BF00813C
	s_cbranch_scc1 label_0E66                                  // 0000000076BC: BF85002F
	s_branch label_0E37                                        // 0000000076C0: BF820000

00000000000076c4 <label_0E37>:
	s_add_i32 s62, 4, s46                                      // 0000000076C4: 813E2E84
	s_mul_i32 s62, s62, 16                                     // 0000000076C8: 923E903E
	s_add_i32 s62, s80, s62                                    // 0000000076CC: 813E3E50
	s_add_i32 s61, s62, 16                                     // 0000000076D0: 813D903E
	s_add_i32 s61, s61, 16                                     // 0000000076D4: 813D903D
	s_cmp_lt_i32 s61, s81                                      // 0000000076D8: BF04513D
	s_cselect_b32 s60, 1, 0                                    // 0000000076DC: 853C8081
	s_sub_i32 s62, s62, 16                                     // 0000000076E0: 81BE903E
	s_cmp_gt_i32 s62, s82                                      // 0000000076E4: BF02523E
	s_cselect_b32 s61, 1, 0                                    // 0000000076E8: 853D8081
	s_or_b32 s60, s60, s61                                     // 0000000076EC: 873C3D3C
	s_cmp_eq_i32 s60, 1                                        // 0000000076F0: BF00813C
	s_cbranch_scc1 label_0F05                                  // 0000000076F4: BF8500C0
	s_add_i32 s61, s62, 32                                     // 0000000076F8: 813DA03E
	s_add_i32 s62, s62, 16                                     // 0000000076FC: 813E903E
	s_cmp_lt_i32 s62, s81                                      // 000000007700: BF04513E
	s_cselect_b32 s60, 1, 0                                    // 000000007704: 853C8081
	s_cmp_gt_i32 s61, s82                                      // 000000007708: BF02523D
	s_cselect_b32 s61, 1, 0                                    // 00000000770C: 853D8081
	s_or_b32 s60, s60, s61                                     // 000000007710: 873C3D3C
	s_cmp_eq_i32 s60, 1                                        // 000000007714: BF00813C
	s_cbranch_scc1 label_0EB8                                  // 000000007718: BF85006A
	s_branch label_0E4E                                        // 00000000771C: BF820000

0000000000007720 <label_0E4E>:
	s_add_i32 s62, 8, s46                                      // 000000007720: 813E2E88
	s_mul_i32 s62, s62, 16                                     // 000000007724: 923E903E
	s_add_i32 s62, s80, s62                                    // 000000007728: 813E3E50
	s_add_i32 s61, s62, 16                                     // 00000000772C: 813D903E
	s_add_i32 s61, s61, 16                                     // 000000007730: 813D903D
	s_cmp_lt_i32 s61, s81                                      // 000000007734: BF04513D
	s_cselect_b32 s60, 1, 0                                    // 000000007738: 853C8081
	s_sub_i32 s62, s62, 16                                     // 00000000773C: 81BE903E
	s_cmp_gt_i32 s62, s82                                      // 000000007740: BF02523E
	s_cselect_b32 s61, 1, 0                                    // 000000007744: 853D8081
	s_or_b32 s60, s60, s61                                     // 000000007748: 873C3D3C
	s_cmp_eq_i32 s60, 1                                        // 00000000774C: BF00813C
	s_cbranch_scc1 label_0F57                                  // 000000007750: BF8500FB
	s_add_i32 s61, s62, 32                                     // 000000007754: 813DA03E
	s_add_i32 s62, s62, 16                                     // 000000007758: 813E903E
	s_cmp_lt_i32 s62, s81                                      // 00000000775C: BF04513E
	s_cselect_b32 s60, 1, 0                                    // 000000007760: 853C8081
	s_cmp_gt_i32 s61, s82                                      // 000000007764: BF02523D
	s_cselect_b32 s61, 1, 0                                    // 000000007768: 853D8081
	s_or_b32 s60, s60, s61                                     // 00000000776C: 873C3D3C
	s_cmp_eq_i32 s60, 1                                        // 000000007770: BF00813C
	s_cbranch_scc1 label_0F0A                                  // 000000007774: BF8500A5
	s_branch label_0F5C                                        // 000000007778: BF8200F6

000000000000777c <label_0E66>:
	v_and_b32_e32 v28, 15, v0                                  // 00000000777C: 2638008F
	v_add_u32_e32 v28, s62, v28                                // 000000007780: 6838383E
	v_lshrrev_b32_e32 v29, 4, v0                               // 000000007784: 203A0084
	v_lshlrev_b32_e32 v29, 2, v29                              // 000000007788: 243A3A82
	v_add_i32 v29, 0, v29                                      // 00000000778C: D29C001D 00023A80
	v_add_i32 v29, s59, v29                                    // 000000007794: D29C001D 00023A3B
	v_sub_i32 v29, v29, v28                                    // 00000000779C: D29D001D 0002391D
	v_cmp_ge_i32_e64 vcc, v29, s98                             // 0000000077A4: D0C6006A 0000C51D
	v_sub_i32 v29, 0, v29                                      // 0000000077AC: D29D001D 00023A80
	v_cndmask_b32_e32 v48, v48, v151, vcc                      // 0000000077B4: 00612F30
	v_cmp_ge_i32_e64 vcc, v29, s97                             // 0000000077B8: D0C6006A 0000C31D
	s_nop 1                                                    // 0000000077C0: BF800001
	v_cndmask_b32_e32 v48, v48, v151, vcc                      // 0000000077C4: 00612F30
	v_and_b32_e32 v28, 15, v0                                  // 0000000077C8: 2638008F
	v_add_u32_e32 v28, s62, v28                                // 0000000077CC: 6838383E
	v_lshrrev_b32_e32 v29, 4, v0                               // 0000000077D0: 203A0084
	v_lshlrev_b32_e32 v29, 2, v29                              // 0000000077D4: 243A3A82
	v_add_i32 v29, 1, v29                                      // 0000000077D8: D29C001D 00023A81
	v_add_i32 v29, s59, v29                                    // 0000000077E0: D29C001D 00023A3B
	v_sub_i32 v29, v29, v28                                    // 0000000077E8: D29D001D 0002391D
	v_cmp_ge_i32_e64 vcc, v29, s98                             // 0000000077F0: D0C6006A 0000C51D
	v_sub_i32 v29, 0, v29                                      // 0000000077F8: D29D001D 00023A80
	v_cndmask_b32_e32 v49, v49, v151, vcc                      // 000000007800: 00632F31
	v_cmp_ge_i32_e64 vcc, v29, s97                             // 000000007804: D0C6006A 0000C31D
	s_nop 1                                                    // 00000000780C: BF800001
	v_cndmask_b32_e32 v49, v49, v151, vcc                      // 000000007810: 00632F31
	v_and_b32_e32 v28, 15, v0                                  // 000000007814: 2638008F
	v_add_u32_e32 v28, s62, v28                                // 000000007818: 6838383E
	v_lshrrev_b32_e32 v29, 4, v0                               // 00000000781C: 203A0084
	v_lshlrev_b32_e32 v29, 2, v29                              // 000000007820: 243A3A82
	v_add_i32 v29, 2, v29                                      // 000000007824: D29C001D 00023A82
	v_add_i32 v29, s59, v29                                    // 00000000782C: D29C001D 00023A3B
	v_sub_i32 v29, v29, v28                                    // 000000007834: D29D001D 0002391D
	v_cmp_ge_i32_e64 vcc, v29, s98                             // 00000000783C: D0C6006A 0000C51D
	v_sub_i32 v29, 0, v29                                      // 000000007844: D29D001D 00023A80
	v_cndmask_b32_e32 v50, v50, v151, vcc                      // 00000000784C: 00652F32
	v_cmp_ge_i32_e64 vcc, v29, s97                             // 000000007850: D0C6006A 0000C31D
	s_nop 1                                                    // 000000007858: BF800001
	v_cndmask_b32_e32 v50, v50, v151, vcc                      // 00000000785C: 00652F32
	v_and_b32_e32 v28, 15, v0                                  // 000000007860: 2638008F
	v_add_u32_e32 v28, s62, v28                                // 000000007864: 6838383E
	v_lshrrev_b32_e32 v29, 4, v0                               // 000000007868: 203A0084
	v_lshlrev_b32_e32 v29, 2, v29                              // 00000000786C: 243A3A82
	v_add_i32 v29, 3, v29                                      // 000000007870: D29C001D 00023A83
	v_add_i32 v29, s59, v29                                    // 000000007878: D29C001D 00023A3B
	v_sub_i32 v29, v29, v28                                    // 000000007880: D29D001D 0002391D
	v_cmp_ge_i32_e64 vcc, v29, s98                             // 000000007888: D0C6006A 0000C51D
	v_sub_i32 v29, 0, v29                                      // 000000007890: D29D001D 00023A80
	v_cndmask_b32_e32 v51, v51, v151, vcc                      // 000000007898: 00672F33
	v_cmp_ge_i32_e64 vcc, v29, s97                             // 00000000789C: D0C6006A 0000C31D
	s_nop 1                                                    // 0000000078A4: BF800001
	v_cndmask_b32_e32 v51, v51, v151, vcc                      // 0000000078A8: 00672F33
	s_branch label_0E37                                        // 0000000078AC: BF82FF85

00000000000078b0 <label_0EB3>:
	v_mov_b32_e32 v48, v151                                    // 0000000078B0: 7E600397
	v_mov_b32_e32 v49, v151                                    // 0000000078B4: 7E620397
	v_mov_b32_e32 v50, v151                                    // 0000000078B8: 7E640397
	v_mov_b32_e32 v51, v151                                    // 0000000078BC: 7E660397
	s_branch label_0E37                                        // 0000000078C0: BF82FF80

00000000000078c4 <label_0EB8>:
	v_and_b32_e32 v28, 15, v0                                  // 0000000078C4: 2638008F
	v_add_u32_e32 v28, s62, v28                                // 0000000078C8: 6838383E
	v_lshrrev_b32_e32 v29, 4, v0                               // 0000000078CC: 203A0084
	v_lshlrev_b32_e32 v29, 2, v29                              // 0000000078D0: 243A3A82
	v_add_i32 v29, 0, v29                                      // 0000000078D4: D29C001D 00023A80
	v_add_i32 v29, s59, v29                                    // 0000000078DC: D29C001D 00023A3B
	v_sub_i32 v29, v29, v28                                    // 0000000078E4: D29D001D 0002391D
	v_cmp_ge_i32_e64 vcc, v29, s98                             // 0000000078EC: D0C6006A 0000C51D
	v_sub_i32 v29, 0, v29                                      // 0000000078F4: D29D001D 00023A80
	v_cndmask_b32_e32 v52, v52, v151, vcc                      // 0000000078FC: 00692F34
	v_cmp_ge_i32_e64 vcc, v29, s97                             // 000000007900: D0C6006A 0000C31D
	s_nop 1                                                    // 000000007908: BF800001
	v_cndmask_b32_e32 v52, v52, v151, vcc                      // 00000000790C: 00692F34
	v_and_b32_e32 v28, 15, v0                                  // 000000007910: 2638008F
	v_add_u32_e32 v28, s62, v28                                // 000000007914: 6838383E
	v_lshrrev_b32_e32 v29, 4, v0                               // 000000007918: 203A0084
	v_lshlrev_b32_e32 v29, 2, v29                              // 00000000791C: 243A3A82
	v_add_i32 v29, 1, v29                                      // 000000007920: D29C001D 00023A81
	v_add_i32 v29, s59, v29                                    // 000000007928: D29C001D 00023A3B
	v_sub_i32 v29, v29, v28                                    // 000000007930: D29D001D 0002391D
	v_cmp_ge_i32_e64 vcc, v29, s98                             // 000000007938: D0C6006A 0000C51D
	v_sub_i32 v29, 0, v29                                      // 000000007940: D29D001D 00023A80
	v_cndmask_b32_e32 v53, v53, v151, vcc                      // 000000007948: 006B2F35
	v_cmp_ge_i32_e64 vcc, v29, s97                             // 00000000794C: D0C6006A 0000C31D
	s_nop 1                                                    // 000000007954: BF800001
	v_cndmask_b32_e32 v53, v53, v151, vcc                      // 000000007958: 006B2F35
	v_and_b32_e32 v28, 15, v0                                  // 00000000795C: 2638008F
	v_add_u32_e32 v28, s62, v28                                // 000000007960: 6838383E
	v_lshrrev_b32_e32 v29, 4, v0                               // 000000007964: 203A0084
	v_lshlrev_b32_e32 v29, 2, v29                              // 000000007968: 243A3A82
	v_add_i32 v29, 2, v29                                      // 00000000796C: D29C001D 00023A82
	v_add_i32 v29, s59, v29                                    // 000000007974: D29C001D 00023A3B
	v_sub_i32 v29, v29, v28                                    // 00000000797C: D29D001D 0002391D
	v_cmp_ge_i32_e64 vcc, v29, s98                             // 000000007984: D0C6006A 0000C51D
	v_sub_i32 v29, 0, v29                                      // 00000000798C: D29D001D 00023A80
	v_cndmask_b32_e32 v54, v54, v151, vcc                      // 000000007994: 006D2F36
	v_cmp_ge_i32_e64 vcc, v29, s97                             // 000000007998: D0C6006A 0000C31D
	s_nop 1                                                    // 0000000079A0: BF800001
	v_cndmask_b32_e32 v54, v54, v151, vcc                      // 0000000079A4: 006D2F36
	v_and_b32_e32 v28, 15, v0                                  // 0000000079A8: 2638008F
	v_add_u32_e32 v28, s62, v28                                // 0000000079AC: 6838383E
	v_lshrrev_b32_e32 v29, 4, v0                               // 0000000079B0: 203A0084
	v_lshlrev_b32_e32 v29, 2, v29                              // 0000000079B4: 243A3A82
	v_add_i32 v29, 3, v29                                      // 0000000079B8: D29C001D 00023A83
	v_add_i32 v29, s59, v29                                    // 0000000079C0: D29C001D 00023A3B
	v_sub_i32 v29, v29, v28                                    // 0000000079C8: D29D001D 0002391D
	v_cmp_ge_i32_e64 vcc, v29, s98                             // 0000000079D0: D0C6006A 0000C51D
	v_sub_i32 v29, 0, v29                                      // 0000000079D8: D29D001D 00023A80
	v_cndmask_b32_e32 v55, v55, v151, vcc                      // 0000000079E0: 006F2F37
	v_cmp_ge_i32_e64 vcc, v29, s97                             // 0000000079E4: D0C6006A 0000C31D
	s_nop 1                                                    // 0000000079EC: BF800001
	v_cndmask_b32_e32 v55, v55, v151, vcc                      // 0000000079F0: 006F2F37
	s_branch label_0E4E                                        // 0000000079F4: BF82FF4A

00000000000079f8 <label_0F05>:
	v_mov_b32_e32 v52, v151                                    // 0000000079F8: 7E680397
	v_mov_b32_e32 v53, v151                                    // 0000000079FC: 7E6A0397
	v_mov_b32_e32 v54, v151                                    // 000000007A00: 7E6C0397
	v_mov_b32_e32 v55, v151                                    // 000000007A04: 7E6E0397
	s_branch label_0E4E                                        // 000000007A08: BF82FF45

0000000000007a0c <label_0F0A>:
	v_and_b32_e32 v28, 15, v0                                  // 000000007A0C: 2638008F
	v_add_u32_e32 v28, s62, v28                                // 000000007A10: 6838383E
	v_lshrrev_b32_e32 v29, 4, v0                               // 000000007A14: 203A0084
	v_lshlrev_b32_e32 v29, 2, v29                              // 000000007A18: 243A3A82
	v_add_i32 v29, 0, v29                                      // 000000007A1C: D29C001D 00023A80
	v_add_i32 v29, s59, v29                                    // 000000007A24: D29C001D 00023A3B
	v_sub_i32 v29, v29, v28                                    // 000000007A2C: D29D001D 0002391D
	v_cmp_ge_i32_e64 vcc, v29, s98                             // 000000007A34: D0C6006A 0000C51D
	v_sub_i32 v29, 0, v29                                      // 000000007A3C: D29D001D 00023A80
	v_cndmask_b32_e32 v56, v56, v151, vcc                      // 000000007A44: 00712F38
	v_cmp_ge_i32_e64 vcc, v29, s97                             // 000000007A48: D0C6006A 0000C31D
	s_nop 1                                                    // 000000007A50: BF800001
	v_cndmask_b32_e32 v56, v56, v151, vcc                      // 000000007A54: 00712F38
	v_and_b32_e32 v28, 15, v0                                  // 000000007A58: 2638008F
	v_add_u32_e32 v28, s62, v28                                // 000000007A5C: 6838383E
	v_lshrrev_b32_e32 v29, 4, v0                               // 000000007A60: 203A0084
	v_lshlrev_b32_e32 v29, 2, v29                              // 000000007A64: 243A3A82
	v_add_i32 v29, 1, v29                                      // 000000007A68: D29C001D 00023A81
	v_add_i32 v29, s59, v29                                    // 000000007A70: D29C001D 00023A3B
	v_sub_i32 v29, v29, v28                                    // 000000007A78: D29D001D 0002391D
	v_cmp_ge_i32_e64 vcc, v29, s98                             // 000000007A80: D0C6006A 0000C51D
	v_sub_i32 v29, 0, v29                                      // 000000007A88: D29D001D 00023A80
	v_cndmask_b32_e32 v57, v57, v151, vcc                      // 000000007A90: 00732F39
	v_cmp_ge_i32_e64 vcc, v29, s97                             // 000000007A94: D0C6006A 0000C31D
	s_nop 1                                                    // 000000007A9C: BF800001
	v_cndmask_b32_e32 v57, v57, v151, vcc                      // 000000007AA0: 00732F39
	v_and_b32_e32 v28, 15, v0                                  // 000000007AA4: 2638008F
	v_add_u32_e32 v28, s62, v28                                // 000000007AA8: 6838383E
	v_lshrrev_b32_e32 v29, 4, v0                               // 000000007AAC: 203A0084
	v_lshlrev_b32_e32 v29, 2, v29                              // 000000007AB0: 243A3A82
	v_add_i32 v29, 2, v29                                      // 000000007AB4: D29C001D 00023A82
	v_add_i32 v29, s59, v29                                    // 000000007ABC: D29C001D 00023A3B
	v_sub_i32 v29, v29, v28                                    // 000000007AC4: D29D001D 0002391D
	v_cmp_ge_i32_e64 vcc, v29, s98                             // 000000007ACC: D0C6006A 0000C51D
	v_sub_i32 v29, 0, v29                                      // 000000007AD4: D29D001D 00023A80
	v_cndmask_b32_e32 v58, v58, v151, vcc                      // 000000007ADC: 00752F3A
	v_cmp_ge_i32_e64 vcc, v29, s97                             // 000000007AE0: D0C6006A 0000C31D
	s_nop 1                                                    // 000000007AE8: BF800001
	v_cndmask_b32_e32 v58, v58, v151, vcc                      // 000000007AEC: 00752F3A
	v_and_b32_e32 v28, 15, v0                                  // 000000007AF0: 2638008F
	v_add_u32_e32 v28, s62, v28                                // 000000007AF4: 6838383E
	v_lshrrev_b32_e32 v29, 4, v0                               // 000000007AF8: 203A0084
	v_lshlrev_b32_e32 v29, 2, v29                              // 000000007AFC: 243A3A82
	v_add_i32 v29, 3, v29                                      // 000000007B00: D29C001D 00023A83
	v_add_i32 v29, s59, v29                                    // 000000007B08: D29C001D 00023A3B
	v_sub_i32 v29, v29, v28                                    // 000000007B10: D29D001D 0002391D
	v_cmp_ge_i32_e64 vcc, v29, s98                             // 000000007B18: D0C6006A 0000C51D
	v_sub_i32 v29, 0, v29                                      // 000000007B20: D29D001D 00023A80
	v_cndmask_b32_e32 v59, v59, v151, vcc                      // 000000007B28: 00772F3B
	v_cmp_ge_i32_e64 vcc, v29, s97                             // 000000007B2C: D0C6006A 0000C31D
	s_nop 1                                                    // 000000007B34: BF800001
	v_cndmask_b32_e32 v59, v59, v151, vcc                      // 000000007B38: 00772F3B
	s_branch label_0F5C                                        // 000000007B3C: BF820005

0000000000007b40 <label_0F57>:
	v_mov_b32_e32 v56, v151                                    // 000000007B40: 7E700397
	v_mov_b32_e32 v57, v151                                    // 000000007B44: 7E720397
	v_mov_b32_e32 v58, v151                                    // 000000007B48: 7E740397
	v_mov_b32_e32 v59, v151                                    // 000000007B4C: 7E760397
	s_branch label_0F5C                                        // 000000007B50: BF820000

0000000000007b54 <label_0F5C>:
	s_cmp_lt_i32 s100, 0xc0                                    // 000000007B54: BF04FF64 000000C0
	s_cbranch_scc0 label_0FB1                                  // 000000007B5C: BF84004D
	s_cmp_le_i32 s100, 64                                      // 000000007B60: BF05C064
	s_cbranch_scc1 label_0F68                                  // 000000007B64: BF850007
	s_cmp_le_i32 s100, 0x80                                    // 000000007B68: BF05FF64 00000080
	s_cbranch_scc1 label_0F80                                  // 000000007B70: BF850017
	s_cmp_lt_i32 s100, 0xc0                                    // 000000007B74: BF04FF64 000000C0
	s_cbranch_scc1 label_0F98                                  // 000000007B7C: BF85002C
	s_branch label_0FB1                                        // 000000007B80: BF820044

0000000000007b84 <label_0F68>:
	s_mov_b32 s60, 0                                           // 000000007B84: BEBC0080
	v_and_b32_e32 v28, 15, v0                                  // 000000007B88: 2638008F
	v_add_u32_e64 v28, v28, s60                                // 000000007B8C: D134001C 0000791C
	v_mul_i32_i24_e64 v29, s46, 16                             // 000000007B94: D106001D 0001202E
	v_add_u32_e32 v28, v28, v29                                // 000000007B9C: 68383B1C
	v_cmp_lt_u32_e64 s[60:61], v28, s100                       // 000000007BA0: D0C9003C 0000C91C
	s_nop 1                                                    // 000000007BA8: BF800001
	v_cndmask_b32_e64 v48, v151, v48, s[60:61]                 // 000000007BAC: D1000030 00F26197
	v_cndmask_b32_e64 v49, v151, v49, s[60:61]                 // 000000007BB4: D1000031 00F26397
	v_cndmask_b32_e64 v50, v151, v50, s[60:61]                 // 000000007BBC: D1000032 00F26597
	v_cndmask_b32_e64 v51, v151, v51, s[60:61]                 // 000000007BC4: D1000033 00F26797
	s_branch label_0F93                                        // 000000007BCC: BF820013

0000000000007bd0 <label_0F80>:
	s_mov_b32 s60, 64                                          // 000000007BD0: BEBC00C0
	v_and_b32_e32 v28, 15, v0                                  // 000000007BD4: 2638008F
	v_add_u32_e64 v28, v28, s60                                // 000000007BD8: D134001C 0000791C
	v_mul_i32_i24_e64 v29, s46, 16                             // 000000007BE0: D106001D 0001202E
	v_add_u32_e32 v28, v28, v29                                // 000000007BE8: 68383B1C
	v_cmp_lt_u32_e64 s[60:61], v28, s100                       // 000000007BEC: D0C9003C 0000C91C
	s_nop 1                                                    // 000000007BF4: BF800001
	v_cndmask_b32_e64 v52, v151, v52, s[60:61]                 // 000000007BF8: D1000034 00F26997
	v_cndmask_b32_e64 v53, v151, v53, s[60:61]                 // 000000007C00: D1000035 00F26B97
	v_cndmask_b32_e64 v54, v151, v54, s[60:61]                 // 000000007C08: D1000036 00F26D97
	v_cndmask_b32_e64 v55, v151, v55, s[60:61]                 // 000000007C10: D1000037 00F26F97
	s_branch label_0FAC                                        // 000000007C18: BF820019

0000000000007c1c <label_0F93>:
	v_mov_b32_e32 v52, v151                                    // 000000007C1C: 7E680397
	v_mov_b32_e32 v53, v151                                    // 000000007C20: 7E6A0397
	v_mov_b32_e32 v54, v151                                    // 000000007C24: 7E6C0397
	v_mov_b32_e32 v55, v151                                    // 000000007C28: 7E6E0397
	s_branch label_0FAC                                        // 000000007C2C: BF820014

0000000000007c30 <label_0F98>:
	s_mov_b32 s60, 0x80                                        // 000000007C30: BEBC00FF 00000080
	v_and_b32_e32 v28, 15, v0                                  // 000000007C38: 2638008F
	v_add_u32_e64 v28, v28, s60                                // 000000007C3C: D134001C 0000791C
	v_mul_i32_i24_e64 v29, s46, 16                             // 000000007C44: D106001D 0001202E
	v_add_u32_e32 v28, v28, v29                                // 000000007C4C: 68383B1C
	v_cmp_lt_u32_e64 s[60:61], v28, s100                       // 000000007C50: D0C9003C 0000C91C
	s_nop 1                                                    // 000000007C58: BF800001
	v_cndmask_b32_e64 v56, v151, v56, s[60:61]                 // 000000007C5C: D1000038 00F27197
	v_cndmask_b32_e64 v57, v151, v57, s[60:61]                 // 000000007C64: D1000039 00F27397
	v_cndmask_b32_e64 v58, v151, v58, s[60:61]                 // 000000007C6C: D100003A 00F27597
	v_cndmask_b32_e64 v59, v151, v59, s[60:61]                 // 000000007C74: D100003B 00F27797
	s_branch label_0FB1                                        // 000000007C7C: BF820005

0000000000007c80 <label_0FAC>:
	v_mov_b32_e32 v56, v151                                    // 000000007C80: 7E700397
	v_mov_b32_e32 v57, v151                                    // 000000007C84: 7E720397
	v_mov_b32_e32 v58, v151                                    // 000000007C88: 7E740397
	v_mov_b32_e32 v59, v151                                    // 000000007C8C: 7E760397
	s_branch label_0FB1                                        // 000000007C90: BF820000

0000000000007c94 <label_0FB1>:
	s_waitcnt lgkmcnt(8)                                       // 000000007C94: BF8CC87F
	s_barrier                                                  // 000000007C98: BF8A0000
	v_mfma_f32_16x16x16_f16 v[72:75], v[92:93], a[96:97], 0    // 000000007C9C: D3CD0048 1202C15C
	ds_read_b128 a[144:147], v12 offset:4352                   // 000000007CA4: DBFE1100 9000000C
	ds_read_b128 a[148:151], v12 offset:4864                   // 000000007CAC: DBFE1300 9400000C
	v_mfma_f32_16x16x16_f16 v[72:75], v[94:95], a[98:99], v[72:75]// 000000007CB4: D3CD0048 1522C55E
	v_fma_f32 v48, v48, s57, -v124                             // 000000007CBC: D1CB0030 85F07330
	v_fma_f32 v49, v49, s57, -v125                             // 000000007CC4: D1CB0031 85F47331
	v_fma_f32 v50, v50, s57, -v126                             // 000000007CCC: D1CB0032 85F87332
	v_mfma_f32_16x16x16_f16 v[72:75], v[96:97], a[100:101], v[72:75]// 000000007CD4: D3CD0048 1522C960
	v_fma_f32 v51, v51, s57, -v127                             // 000000007CDC: D1CB0033 85FC7333
	v_fma_f32 v52, v52, s57, -v124                             // 000000007CE4: D1CB0034 85F07334
	v_fma_f32 v53, v53, s57, -v125                             // 000000007CEC: D1CB0035 85F47335
	v_mfma_f32_16x16x16_f16 v[72:75], v[98:99], a[102:103], v[72:75]// 000000007CF4: D3CD0048 1522CD62
	v_fma_f32 v54, v54, s57, -v126                             // 000000007CFC: D1CB0036 85F87336
	v_fma_f32 v55, v55, s57, -v127                             // 000000007D04: D1CB0037 85FC7337
	v_fma_f32 v56, v56, s57, -v124                             // 000000007D0C: D1CB0038 85F07338
	v_mfma_f32_16x16x16_f16 v[72:75], v[100:101], a[104:105], v[72:75]// 000000007D14: D3CD0048 1522D164
	ds_read_b128 a[152:155], v12 offset:6528                   // 000000007D1C: DBFE1980 9800000C
	ds_read_b128 a[156:159], v12 offset:7040                   // 000000007D24: DBFE1B80 9C00000C
	v_mfma_f32_16x16x16_f16 v[72:75], v[102:103], a[106:107], v[72:75]// 000000007D2C: D3CD0048 1522D566
	v_fma_f32 v57, v57, s57, -v125                             // 000000007D34: D1CB0039 85F47339
	v_fma_f32 v58, v58, s57, -v126                             // 000000007D3C: D1CB003A 85F8733A
	v_fma_f32 v59, v59, s57, -v127                             // 000000007D44: D1CB003B 85FC733B
	v_mfma_f32_16x16x16_f16 v[72:75], v[104:105], a[108:109], v[72:75]// 000000007D4C: D3CD0048 1522D968
	v_exp_f32_e32 v48, v48                                     // 000000007D54: 7E604130
	v_mfma_f32_16x16x16_f16 v[72:75], v[106:107], a[110:111], v[72:75]// 000000007D58: D3CD0048 1522DD6A
	v_exp_f32_e32 v49, v49                                     // 000000007D60: 7E624131
	v_mfma_f32_16x16x16_f16 v[76:79], v[92:93], a[112:113], 0  // 000000007D64: D3CD004C 1202E15C
	ds_read_b64 v[136:137], v19 offset:24320                   // 000000007D6C: D8EC5F00 88000013
	ds_read_b64 v[138:139], v19 offset:26368                   // 000000007D74: D8EC6700 8A000013
	v_mfma_f32_16x16x16_f16 v[76:79], v[94:95], a[114:115], v[76:79]// 000000007D7C: D3CD004C 1532E55E
	v_exp_f32_e32 v50, v50                                     // 000000007D84: 7E644132
	v_mfma_f32_16x16x16_f16 v[76:79], v[96:97], a[116:117], v[76:79]// 000000007D88: D3CD004C 1532E960
	ds_read_b64 v[140:141], v19 offset:28416                   // 000000007D90: D8EC6F00 8C000013
	ds_read_b64 v[142:143], v19 offset:30464                   // 000000007D98: D8EC7700 8E000013
	v_mfma_f32_16x16x16_f16 v[76:79], v[98:99], a[118:119], v[76:79]// 000000007DA0: D3CD004C 1532ED62
	v_exp_f32_e32 v51, v51                                     // 000000007DA8: 7E664133
	v_mfma_f32_16x16x16_f16 v[76:79], v[100:101], a[120:121], v[76:79]// 000000007DAC: D3CD004C 1532F164
	v_exp_f32_e32 v52, v52                                     // 000000007DB4: 7E684134
	v_mfma_f32_16x16x16_f16 v[76:79], v[102:103], a[122:123], v[76:79]// 000000007DB8: D3CD004C 1532F566
	v_exp_f32_e32 v53, v53                                     // 000000007DC0: 7E6A4135
	v_mfma_f32_16x16x16_f16 v[76:79], v[104:105], a[124:125], v[76:79]// 000000007DC4: D3CD004C 1532F968
	v_exp_f32_e32 v54, v54                                     // 000000007DCC: 7E6C4136
	v_mfma_f32_16x16x16_f16 v[76:79], v[106:107], a[126:127], v[76:79]// 000000007DD0: D3CD004C 1532FD6A
	v_exp_f32_e32 v55, v55                                     // 000000007DD8: 7E6E4137
	v_mfma_f32_16x16x16_f16 v[80:83], v[92:93], a[128:129], 0  // 000000007DDC: D3CD0050 1203015C
	v_exp_f32_e32 v56, v56                                     // 000000007DE4: 7E704138
	v_mfma_f32_16x16x16_f16 v[80:83], v[94:95], a[130:131], v[80:83]// 000000007DE8: D3CD0050 1543055E
	v_exp_f32_e32 v57, v57                                     // 000000007DF0: 7E724139
	v_mfma_f32_16x16x16_f16 v[80:83], v[96:97], a[132:133], v[80:83]// 000000007DF4: D3CD0050 15430960
	v_exp_f32_e32 v58, v58                                     // 000000007DFC: 7E74413A
	v_mfma_f32_16x16x16_f16 v[80:83], v[98:99], a[134:135], v[80:83]// 000000007E00: D3CD0050 15430D62
	v_exp_f32_e32 v59, v59                                     // 000000007E08: 7E76413B
	v_mfma_f32_16x16x16_f16 v[80:83], v[100:101], a[136:137], v[80:83]// 000000007E0C: D3CD0050 15431164
	v_cvt_pkrtz_f16_f32 v144, v48, v49                         // 000000007E14: D2960090 00026330
	v_cvt_pkrtz_f16_f32 v145, v50, v51                         // 000000007E1C: D2960091 00026732
	v_cvt_pkrtz_f16_f32 v146, v52, v53                         // 000000007E24: D2960092 00026B34
	v_mfma_f32_16x16x16_f16 v[80:83], v[102:103], a[138:139], v[80:83]// 000000007E2C: D3CD0050 15431566
	v_cvt_pkrtz_f16_f32 v147, v54, v55                         // 000000007E34: D2960093 00026F36
	v_cvt_pkrtz_f16_f32 v148, v56, v57                         // 000000007E3C: D2960094 00027338
	v_cvt_pkrtz_f16_f32 v149, v58, v59                         // 000000007E44: D2960095 0002773A
	v_mfma_f32_16x16x16_f16 v[80:83], v[104:105], a[140:141], v[80:83]// 000000007E4C: D3CD0050 15431968
	v_add_u32_e32 v7, s66, v7                                  // 000000007E54: 680E0E42
	v_add_u32_e32 v8, s66, v8                                  // 000000007E58: 68101042
	v_mfma_f32_16x16x16_f16 v[80:83], v[106:107], a[142:143], v[80:83]// 000000007E5C: D3CD0050 15431D6A
	s_waitcnt lgkmcnt(0)                                       // 000000007E64: BF8CC07F
	s_barrier                                                  // 000000007E68: BF8A0000
	v_mfma_f32_16x16x16_f16 v[152:155], v[108:109], v[144:145], v[152:155]// 000000007E6C: D3CD0098 0663216C
	v_subrev_f32_dpp v72, v150, v72 quad_perm:[0,0,0,0] row_mask:0xf bank_mask:0xf// 000000007E74: 069090FA FF000096
	v_subrev_f32_dpp v73, v150, v73 quad_perm:[1,1,1,1] row_mask:0xf bank_mask:0xf// 000000007E7C: 069292FA FF005596
	v_subrev_f32_dpp v74, v150, v74 quad_perm:[2,2,2,2] row_mask:0xf bank_mask:0xf// 000000007E84: 069494FA FF00AA96
	v_mfma_f32_16x16x16_f16 v[156:159], v[110:111], v[144:145], v[156:159]// 000000007E8C: D3CD009C 0673216E
	v_subrev_f32_dpp v75, v150, v75 quad_perm:[3,3,3,3] row_mask:0xf bank_mask:0xf// 000000007E94: 069696FA FF00FF96
	v_subrev_f32_dpp v76, v150, v76 quad_perm:[0,0,0,0] row_mask:0xf bank_mask:0xf// 000000007E9C: 069898FA FF000096
	v_subrev_f32_dpp v77, v150, v77 quad_perm:[1,1,1,1] row_mask:0xf bank_mask:0xf// 000000007EA4: 069A9AFA FF005596
	v_mfma_f32_16x16x16_f16 v[160:163], v[112:113], v[144:145], v[160:163]// 000000007EAC: D3CD00A0 06832170
	v_mul_f32_e32 v72, v48, v72                                // 000000007EB4: 0A909130
	v_mul_f32_e32 v73, v49, v73                                // 000000007EB8: 0A929331
	v_mul_f32_e32 v74, v50, v74                                // 000000007EBC: 0A949532
	v_mfma_f32_16x16x16_f16 v[164:167], v[114:115], v[144:145], v[164:167]// 000000007EC0: D3CD00A4 06932172
	v_mul_f32_e32 v75, v51, v75                                // 000000007EC8: 0A969733
	v_mul_f32_e32 v76, v52, v76                                // 000000007ECC: 0A989934
	v_mul_f32_e32 v77, v53, v77                                // 000000007ED0: 0A9A9B35
	v_mfma_f32_16x16x16_f16 v[168:171], v[116:117], v[144:145], v[168:171]// 000000007ED4: D3CD00A8 06A32174
	v_cvt_pkrtz_f16_f32 v72, v72, v73                          // 000000007EDC: D2960048 00029348
	v_cvt_pkrtz_f16_f32 v73, v74, v75                          // 000000007EE4: D2960049 0002974A
	v_cvt_pkrtz_f16_f32 v74, v76, v77                          // 000000007EEC: D296004A 00029B4C
	v_mfma_f32_16x16x16_f16 v[172:175], v[118:119], v[144:145], v[172:175]// 000000007EF4: D3CD00AC 06B32176
	v_mov_b32_dpp v16, v72 quad_perm:[1,0,3,2] row_mask:0xf bank_mask:0xf// 000000007EFC: 7E2002FA FF00B148
	v_perm_b32 v48, v16, v72, v15                              // 000000007F04: D1ED0030 043E9110
	v_mov_b32_dpp v16, v73 quad_perm:[1,0,3,2] row_mask:0xf bank_mask:0xf// 000000007F0C: 7E2002FA FF00B149
	v_mfma_f32_16x16x16_f16 v[176:179], v[120:121], v[144:145], v[176:179]// 000000007F14: D3CD00B0 06C32178
	v_perm_b32 v49, v16, v73, v15                              // 000000007F1C: D1ED0031 043E9310
	v_mov_b32_dpp v16, v74 quad_perm:[1,0,3,2] row_mask:0xf bank_mask:0xf// 000000007F24: 7E2002FA FF00B14A
	v_perm_b32 v50, v16, v74, v15                              // 000000007F2C: D1ED0032 043E9510
	v_mfma_f32_16x16x16_f16 v[180:183], v[122:123], v[144:145], v[180:183]// 000000007F34: D3CD00B4 06D3217A
	ds_write_b32 v18, v48 offset:17408                         // 000000007F3C: D81A4400 00003012
	v_mfma_f32_16x16x16_f16 v[184:187], v[108:109], v[146:147], v[184:187]// 000000007F44: D3CD00B8 06E3256C
	v_subrev_f32_dpp v78, v150, v78 quad_perm:[2,2,2,2] row_mask:0xf bank_mask:0xf// 000000007F4C: 069C9CFA FF00AA96
	v_subrev_f32_dpp v79, v150, v79 quad_perm:[3,3,3,3] row_mask:0xf bank_mask:0xf// 000000007F54: 069E9EFA FF00FF96
	v_subrev_f32_dpp v80, v150, v80 quad_perm:[0,0,0,0] row_mask:0xf bank_mask:0xf// 000000007F5C: 06A0A0FA FF000096
	v_mfma_f32_16x16x16_f16 v[188:191], v[110:111], v[146:147], v[188:191]// 000000007F64: D3CD00BC 06F3256E
	ds_write_b32 v18, v49 offset:17952                         // 000000007F6C: D81A4620 00003112
	v_mfma_f32_16x16x16_f16 v[192:195], v[112:113], v[146:147], v[192:195]// 000000007F74: D3CD00C0 07032570
	v_subrev_f32_dpp v81, v150, v81 quad_perm:[1,1,1,1] row_mask:0xf bank_mask:0xf// 000000007F7C: 06A2A2FA FF005596
	v_subrev_f32_dpp v82, v150, v82 quad_perm:[2,2,2,2] row_mask:0xf bank_mask:0xf// 000000007F84: 06A4A4FA FF00AA96
	v_subrev_f32_dpp v83, v150, v83 quad_perm:[3,3,3,3] row_mask:0xf bank_mask:0xf// 000000007F8C: 06A6A6FA FF00FF96
	v_mfma_f32_16x16x16_f16 v[196:199], v[114:115], v[146:147], v[196:199]// 000000007F94: D3CD00C4 07132572
	ds_write_b32 v18, v50 offset:19712                         // 000000007F9C: D81A4D00 00003212
	v_mfma_f32_16x16x16_f16 v[200:203], v[116:117], v[146:147], v[200:203]// 000000007FA4: D3CD00C8 07232574
	v_mul_f32_e32 v78, v54, v78                                // 000000007FAC: 0A9C9D36
	v_mul_f32_e32 v79, v55, v79                                // 000000007FB0: 0A9E9F37
	v_mul_f32_e32 v80, v56, v80                                // 000000007FB4: 0AA0A138
	v_mfma_f32_16x16x16_f16 v[204:207], v[118:119], v[146:147], v[204:207]// 000000007FB8: D3CD00CC 07332576
	v_mul_f32_e32 v81, v57, v81                                // 000000007FC0: 0AA2A339
	v_mul_f32_e32 v82, v58, v82                                // 000000007FC4: 0AA4A53A
	v_mul_f32_e32 v83, v59, v83                                // 000000007FC8: 0AA6A73B
	v_mfma_f32_16x16x16_f16 v[208:211], v[120:121], v[146:147], v[208:211]// 000000007FCC: D3CD00D0 07432578
	v_cvt_pkrtz_f16_f32 v75, v78, v79                          // 000000007FD4: D296004B 00029F4E
	v_cvt_pkrtz_f16_f32 v76, v80, v81                          // 000000007FDC: D296004C 0002A350
	v_cvt_pkrtz_f16_f32 v77, v82, v83                          // 000000007FE4: D296004D 0002A752
	v_mfma_f32_16x16x16_f16 v[212:215], v[122:123], v[146:147], v[212:215]// 000000007FEC: D3CD00D4 0753257A
	v_mov_b32_dpp v16, v75 quad_perm:[1,0,3,2] row_mask:0xf bank_mask:0xf// 000000007FF4: 7E2002FA FF00B14B
	v_perm_b32 v51, v16, v75, v15                              // 000000007FFC: D1ED0033 043E9710
	v_mov_b32_dpp v16, v76 quad_perm:[1,0,3,2] row_mask:0xf bank_mask:0xf// 000000008004: 7E2002FA FF00B14C
	v_mfma_f32_16x16x16_f16 v[216:219], v[108:109], v[148:149], v[216:219]// 00000000800C: D3CD00D8 0763296C
	v_perm_b32 v52, v16, v76, v15                              // 000000008014: D1ED0034 043E9910
	v_mov_b32_dpp v16, v77 quad_perm:[1,0,3,2] row_mask:0xf bank_mask:0xf// 00000000801C: 7E2002FA FF00B14D
	v_perm_b32 v53, v16, v77, v15                              // 000000008024: D1ED0035 043E9B10
	v_mfma_f32_16x16x16_f16 v[220:223], v[110:111], v[148:149], v[220:223]// 00000000802C: D3CD00DC 0773296E
	ds_write_b32 v18, v51 offset:20256                         // 000000008034: D81A4F20 00003312
	v_mfma_f32_16x16x16_f16 v[224:227], v[112:113], v[148:149], v[224:227]// 00000000803C: D3CD00E0 07832970
	v_mfma_f32_16x16x16_f16 v[228:231], v[114:115], v[148:149], v[228:231]// 000000008044: D3CD00E4 07932972
	ds_write_b32 v18, v52 offset:22016                         // 00000000804C: D81A5600 00003412
	ds_write_b32 v18, v53 offset:22560                         // 000000008054: D81A5820 00003512
	v_mfma_f32_16x16x16_f16 v[232:235], v[116:117], v[148:149], v[232:235]// 00000000805C: D3CD00E8 07A32974
	v_mfma_f32_16x16x16_f16 v[236:239], v[118:119], v[148:149], v[236:239]// 000000008064: D3CD00EC 07B32976
	ds_write_b32 v13, v84 offset:4352                          // 00000000806C: D81A1100 0000540D
	ds_write_b32 v13, v85 offset:5408                          // 000000008074: D81A1520 0000550D
	v_mfma_f32_16x16x16_f16 v[240:243], v[120:121], v[148:149], v[240:243]// 00000000807C: D3CD00F0 07C32978
	s_nop 0                                                    // 000000008084: BF800000
	s_nop 0                                                    // 000000008088: BF800000
	s_nop 0                                                    // 00000000808C: BF800000
	v_mfma_f32_16x16x16_f16 v[244:247], v[122:123], v[148:149], v[244:247]// 000000008090: D3CD00F4 07D3297A
	ds_write_b32 v13, v86 offset:4480                          // 000000008098: D81A1180 0000560D
	ds_write_b32 v13, v87 offset:5536                          // 0000000080A0: D81A15A0 0000570D
	s_barrier                                                  // 0000000080A8: BF8A0000
	v_mfma_f32_16x16x16_f16 a[160:163], a[144:145], v[72:73], a[160:163]// 0000000080AC: D3CD80A0 0E829190
	buffer_atomic_add_f32 v136, v7, s[32:35], 0 offen          // 0000000080B4: E1341000 80088807
	v_mfma_f32_16x16x16_f16 a[164:167], a[146:147], v[72:73], a[164:167]// 0000000080BC: D3CD80A4 0E929192
	ds_read_b32 v124, v21 offset:50688                         // 0000000080C4: D86CC600 7C000015
	ds_read_b32 v150, v21 offset:50944                         // 0000000080CC: D86CC700 96000015
	v_mfma_f32_16x16x16_f16 a[168:171], a[148:149], v[72:73], a[168:171]// 0000000080D4: D3CD80A8 0EA29194
	s_waitcnt lgkmcnt(6)                                       // 0000000080DC: BF8CC67F
	s_barrier                                                  // 0000000080E0: BF8A0000
	v_mfma_f32_16x16x16_f16 a[172:175], a[150:151], v[72:73], a[172:175]// 0000000080E4: D3CD80AC 0EB29196
	ds_read_b128 v[48:51], v17 offset:17408                    // 0000000080EC: D9FE4400 30000011
	v_mfma_f32_16x16x16_f16 a[176:179], a[152:153], v[72:73], a[176:179]// 0000000080F4: D3CD80B0 0EC29198
	v_mfma_f32_16x16x16_f16 a[180:183], a[154:155], v[72:73], a[180:183]// 0000000080FC: D3CD80B4 0ED2919A
	ds_read_b128 v[52:55], v17 offset:18560                    // 000000008104: D9FE4880 34000011
	v_mfma_f32_16x16x16_f16 a[184:187], a[156:157], v[72:73], a[184:187]// 00000000810C: D3CD80B8 0EE2919C
	buffer_atomic_add_f32 v137, v8, s[32:35], 0 offen          // 000000008114: E1341000 80088908
	v_mfma_f32_16x16x16_f16 a[188:191], a[158:159], v[72:73], a[188:191]// 00000000811C: D3CD80BC 0EF2919E
	ds_read_b128 v[56:59], v17 offset:19712                    // 000000008124: D9FE4D00 38000011
	v_mfma_f32_16x16x16_f16 a[192:195], a[144:145], v[74:75], a[192:195]// 00000000812C: D3CD80C0 0F029590
	v_mfma_f32_16x16x16_f16 a[196:199], a[146:147], v[74:75], a[196:199]// 000000008134: D3CD80C4 0F129592
	ds_read_b128 v[60:63], v17 offset:20864                    // 00000000813C: D9FE5180 3C000011
	v_mfma_f32_16x16x16_f16 a[200:203], a[148:149], v[74:75], a[200:203]// 000000008144: D3CD80C8 0F229594
	v_mfma_f32_16x16x16_f16 a[204:207], a[150:151], v[74:75], a[204:207]// 00000000814C: D3CD80CC 0F329596
	ds_read_b128 v[64:67], v17 offset:22016                    // 000000008154: D9FE5600 40000011
	v_mfma_f32_16x16x16_f16 a[208:211], a[152:153], v[74:75], a[208:211]// 00000000815C: D3CD80D0 0F429598
	buffer_atomic_add_f32 v138, v7, s[32:35], 0 offen offset:128// 000000008164: E1341080 80088A07
	v_mfma_f32_16x16x16_f16 a[212:215], a[154:155], v[74:75], a[212:215]// 00000000816C: D3CD80D4 0F52959A
	ds_read_b128 v[68:71], v17 offset:23168                    // 000000008174: D9FE5A80 44000011
	v_mfma_f32_16x16x16_f16 a[216:219], a[156:157], v[74:75], a[216:219]// 00000000817C: D3CD80D8 0F62959C
	v_mfma_f32_16x16x16_f16 a[220:223], a[158:159], v[74:75], a[220:223]// 000000008184: D3CD80DC 0F72959E
	ds_write_b32 v13, v88 offset:13056                         // 00000000818C: D81A3300 0000580D
	v_mfma_f32_16x16x16_f16 a[224:227], a[144:145], v[76:77], a[224:227]// 000000008194: D3CD80E0 0F829990
	v_mfma_f32_16x16x16_f16 a[228:231], a[146:147], v[76:77], a[228:231]// 00000000819C: D3CD80E4 0F929992
	ds_write_b32 v13, v89 offset:14112                         // 0000000081A4: D81A3720 0000590D
	v_mfma_f32_16x16x16_f16 a[232:235], a[148:149], v[76:77], a[232:235]// 0000000081AC: D3CD80E8 0FA29994
	buffer_atomic_add_f32 v139, v8, s[32:35], 0 offen offset:128// 0000000081B4: E1341080 80088B08
	v_mfma_f32_16x16x16_f16 a[236:239], a[150:151], v[76:77], a[236:239]// 0000000081BC: D3CD80EC 0FB29996
	ds_write_b32 v13, v90 offset:13184                         // 0000000081C4: D81A3380 00005A0D
	v_mfma_f32_16x16x16_f16 a[240:243], a[152:153], v[76:77], a[240:243]// 0000000081CC: D3CD80F0 0FC29998
	v_mfma_f32_16x16x16_f16 a[244:247], a[154:155], v[76:77], a[244:247]// 0000000081D4: D3CD80F4 0FD2999A
	ds_write_b32 v13, v91 offset:14240                         // 0000000081DC: D81A37A0 00005B0D
	v_mfma_f32_16x16x16_f16 a[248:251], a[156:157], v[76:77], a[248:251]// 0000000081E4: D3CD80F8 0FE2999C
	v_mfma_f32_16x16x16_f16 a[252:255], a[158:159], v[76:77], a[252:255]// 0000000081EC: D3CD80FC 0FF2999E
	s_waitcnt vmcnt(8) lgkmcnt(4)                              // 0000000081F4: BF8C0478
	s_barrier                                                  // 0000000081F8: BF8A0000
	v_mfma_f32_16x16x16_f16 v[128:131], v[48:49], a[48:49], 0  // 0000000081FC: D3CD0080 12026130
	v_cmp_eq_u32_e32 vcc, v124, v151                           // 000000008204: 7D952F7C
	v_mov_b32_e32 v28, 0                                       // 000000008208: 7E380280
	v_cndmask_b32_e32 v124, v124, v28, vcc                     // 00000000820C: 00F8397C
	v_mul_f32_e32 v124, s48, v124                              // 000000008210: 0AF8F830
	s_nop 0                                                    // 000000008214: BF800000
	v_mfma_f32_16x16x16_f16 v[128:131], v[50:51], a[52:53], v[128:131]// 000000008218: D3CD0080 16026932
	ds_read_b128 a[144:147], v10                               // 000000008220: DBFE0000 9000000A
	v_mov_b32_e32 v32, 0                                       // 000000008228: 7E400280
	s_mov_b64 exec, s[86:87]                                   // 00000000822C: BEFE0156
	buffer_load_dword v32, v1, s[8:11], 0 idxen                // 000000008230: E0502000 80022001
	s_mov_b64 exec, s[84:85]                                   // 000000008238: BEFE0154
	v_mfma_f32_16x16x16_f16 v[128:131], v[52:53], a[56:57], v[128:131]// 00000000823C: D3CD0080 16027134
	v_mfma_f32_16x16x16_f16 v[128:131], v[54:55], a[60:61], v[128:131]// 000000008244: D3CD0080 16027936
	ds_read_b128 a[148:151], v10 offset:512                    // 00000000824C: DBFE0200 9400000A
	v_mov_b32_e32 v33, 0                                       // 000000008254: 7E420280
	s_mov_b64 exec, s[86:87]                                   // 000000008258: BEFE0156
	buffer_load_dword v33, v2, s[8:11], 0 idxen                // 00000000825C: E0502000 80022102
	s_mov_b64 exec, s[84:85]                                   // 000000008264: BEFE0154
	v_mfma_f32_16x16x16_f16 v[128:131], v[56:57], a[64:65], v[128:131]// 000000008268: D3CD0080 16028138
	v_perm_b32 v84, v37, v36, s63                              // 000000008270: D1ED0054 00FE4925
	v_perm_b32 v85, v37, v36, s64                              // 000000008278: D1ED0055 01024925
	v_mfma_f32_16x16x16_f16 v[128:131], v[58:59], a[68:69], v[128:131]// 000000008280: D3CD0080 1602893A
	ds_read_b128 a[152:155], v10 offset:2176                   // 000000008288: DBFE0880 9800000A
	v_mov_b32_e32 v34, 0                                       // 000000008290: 7E440280
	s_mov_b64 exec, s[86:87]                                   // 000000008294: BEFE0156
	buffer_load_dword v34, v3, s[8:11], 0 idxen                // 000000008298: E0502000 80022203
	s_mov_b64 exec, s[84:85]                                   // 0000000082A0: BEFE0154
	v_mfma_f32_16x16x16_f16 v[128:131], v[60:61], a[72:73], v[128:131]// 0000000082A4: D3CD0080 1602913C
	v_perm_b32 v86, v39, v38, s63                              // 0000000082AC: D1ED0056 00FE4D27
	v_perm_b32 v87, v39, v38, s64                              // 0000000082B4: D1ED0057 01024D27
	v_mfma_f32_16x16x16_f16 v[128:131], v[62:63], a[76:77], v[128:131]// 0000000082BC: D3CD0080 1602993E
	ds_read_b128 a[156:159], v10 offset:2688                   // 0000000082C4: DBFE0A80 9C00000A
	v_mov_b32_e32 v35, 0                                       // 0000000082CC: 7E460280
	s_mov_b64 exec, s[86:87]                                   // 0000000082D0: BEFE0156
	buffer_load_dword v35, v4, s[8:11], 0 idxen                // 0000000082D4: E0502000 80022304
	s_mov_b64 exec, s[84:85]                                   // 0000000082DC: BEFE0154
	v_mfma_f32_16x16x16_f16 v[128:131], v[64:65], a[80:81], v[128:131]// 0000000082E0: D3CD0080 1602A140
	v_perm_b32 v88, v45, v44, s63                              // 0000000082E8: D1ED0058 00FE592D
	v_perm_b32 v89, v45, v44, s64                              // 0000000082F0: D1ED0059 0102592D
	v_mfma_f32_16x16x16_f16 v[128:131], v[66:67], a[84:85], v[128:131]// 0000000082F8: D3CD0080 1602A942
	ds_read_b128 v[92:95], v10 offset:8704                     // 000000008300: D9FE2200 5C00000A
	v_mov_b32_e32 v40, 0                                       // 000000008308: 7E500280
	s_mov_b64 exec, s[86:87]                                   // 00000000830C: BEFE0156
	buffer_load_dword v40, v248, s[20:23], 0 idxen             // 000000008310: E0502000 800528F8
	s_mov_b64 exec, s[84:85]                                   // 000000008318: BEFE0154
	v_mfma_f32_16x16x16_f16 v[128:131], v[68:69], a[88:89], v[128:131]// 00000000831C: D3CD0080 1602B144
	v_perm_b32 v90, v47, v46, s63                              // 000000008324: D1ED005A 00FE5D2F
	v_perm_b32 v91, v47, v46, s64                              // 00000000832C: D1ED005B 01025D2F
	v_mfma_f32_16x16x16_f16 v[128:131], v[70:71], a[92:93], v[128:131]// 000000008334: D3CD0080 1602B946
	ds_read_b128 v[96:99], v10 offset:9216                     // 00000000833C: D9FE2400 6000000A
	v_mov_b32_e32 v41, 0                                       // 000000008344: 7E520280
	s_mov_b64 exec, s[86:87]                                   // 000000008348: BEFE0156
	buffer_load_dword v41, v249, s[20:23], 0 idxen             // 00000000834C: E0502000 800529F9
	s_mov_b64 exec, s[84:85]                                   // 000000008354: BEFE0154
	v_mfma_f32_16x16x16_f16 v[132:135], v[48:49], a[50:51], 0  // 000000008358: D3CD0084 12026530
	v_mov_b32_dpp v127, v124 quad_perm:[3,3,3,3] row_mask:0xf bank_mask:0xf// 000000008360: 7EFE02FA FF00FF7C
	v_mov_b32_dpp v126, v124 quad_perm:[2,2,2,2] row_mask:0xf bank_mask:0xf// 000000008368: 7EFC02FA FF00AA7C
	v_mfma_f32_16x16x16_f16 v[132:135], v[50:51], a[54:55], v[132:135]// 000000008370: D3CD0084 16126D32
	ds_read_b128 v[100:103], v10 offset:10880                  // 000000008378: D9FE2A80 6400000A
	v_mov_b32_e32 v42, 0                                       // 000000008380: 7E540280
	s_mov_b64 exec, s[86:87]                                   // 000000008384: BEFE0156
	buffer_load_dword v42, v250, s[20:23], 0 idxen             // 000000008388: E0502000 80052AFA
	s_mov_b64 exec, s[84:85]                                   // 000000008390: BEFE0154
	v_mfma_f32_16x16x16_f16 v[132:135], v[52:53], a[58:59], v[132:135]// 000000008394: D3CD0084 16127534
	v_mov_b32_dpp v125, v124 quad_perm:[1,1,1,1] row_mask:0xf bank_mask:0xf// 00000000839C: 7EFA02FA FF00557C
	v_mov_b32_dpp v124, v124 quad_perm:[0,0,0,0] row_mask:0xf bank_mask:0xf// 0000000083A4: 7EF802FA FF00007C
	s_add_u32 s60, 64, s59                                     // 0000000083AC: 803C3BC0
	v_mfma_f32_16x16x16_f16 v[132:135], v[54:55], a[62:63], v[132:135]// 0000000083B0: D3CD0084 16127D36
	ds_read_b128 v[104:107], v10 offset:11392                  // 0000000083B8: D9FE2C80 6800000A
	v_mov_b32_e32 v43, 0                                       // 0000000083C0: 7E560280
	s_mov_b64 exec, s[86:87]                                   // 0000000083C4: BEFE0156
	buffer_load_dword v43, v251, s[20:23], 0 idxen             // 0000000083C8: E0502000 80052BFB
	s_mov_b64 exec, s[84:85]                                   // 0000000083D0: BEFE0154
	v_mfma_f32_16x16x16_f16 v[132:135], v[56:57], a[66:67], v[132:135]// 0000000083D4: D3CD0084 16128538
	s_cmp_lt_u32 s60, s58                                      // 0000000083DC: BF0A3A3C
	s_cselect_b32 s68, s68, 0                                  // 0000000083E0: 85448044
	s_cselect_b32 s95, s95, 0                                  // 0000000083E4: 855F805F
	s_cselect_b32 s69, s69, 0                                  // 0000000083E8: 85458045
	v_mfma_f32_16x16x16_f16 v[132:135], v[58:59], a[70:71], v[132:135]// 0000000083EC: D3CD0084 16128D3A
	buffer_load_dword v9, s[24:27], 0 idxen lds                // 0000000083F4: E0512000 80060009
	v_mfma_f32_16x16x16_f16 v[132:135], v[60:61], a[74:75], v[132:135]// 0000000083FC: D3CD0084 1612953C
	v_add_u32_e32 v1, s68, v1                                  // 000000008404: 68020244
	v_add_u32_e32 v2, s68, v2                                  // 000000008408: 68040444
	v_add_u32_e32 v3, s68, v3                                  // 00000000840C: 68060644
	v_add_u32_e32 v4, s68, v4                                  // 000000008410: 68080844
	v_mfma_f32_16x16x16_f16 v[132:135], v[62:63], a[78:79], v[132:135]// 000000008414: D3CD0084 16129D3E
	v_add_u32_e32 v248, s95, v248                              // 00000000841C: 69F1F05F
	v_add_u32_e32 v249, s95, v249                              // 000000008420: 69F3F25F
	v_add_u32_e32 v250, s95, v250                              // 000000008424: 69F5F45F
	v_add_u32_e32 v251, s95, v251                              // 000000008428: 69F7F65F
	v_mfma_f32_16x16x16_f16 v[132:135], v[64:65], a[82:83], v[132:135]// 00000000842C: D3CD0084 1612A540
	s_mov_b32 m0, s75                                          // 000000008434: BEFC004B
	v_add_u32_e32 v9, s69, v9                                  // 000000008438: 68121245
	v_mfma_f32_16x16x16_f16 v[132:135], v[66:67], a[86:87], v[132:135]// 00000000843C: D3CD0084 1612AD42
	s_cmp_ge_u32 s59, s99                                      // 000000008444: BF09633B
	s_cselect_b32 s66, s67, s66                                // 000000008448: 85424243
	v_mfma_f32_16x16x16_f16 v[132:135], v[68:69], a[90:91], v[132:135]// 00000000844C: D3CD0084 1612B544
	s_addk_i32 s59, 0x10                                       // 000000008454: B73B0010
	s_nop 0                                                    // 000000008458: BF800000
	s_cmp_lt_i32 s59, s58                                      // 00000000845C: BF043A3B
	v_mfma_f32_16x16x16_f16 v[132:135], v[70:71], a[94:95], v[132:135]// 000000008460: D3CD0084 1612BD46
	s_cbranch_scc0 label_11A8                                  // 000000008468: BF840001
	s_branch label_09C9                                        // 00000000846C: BF82F82D

0000000000008470 <label_11A8>:
	s_nop 0                                                    // 000000008470: BF800000
	s_nop 0                                                    // 000000008474: BF800000
	s_branch label_198A                                        // 000000008478: BF8207D3

000000000000847c <label_11AB>:
	s_waitcnt lgkmcnt(0)                                       // 00000000847C: BF8CC07F
	s_barrier                                                  // 000000008480: BF8A0000
	v_mfma_f32_16x16x16_f16 v[48:51], a[144:145], a[0:1], 0    // 000000008484: D3CD0030 1A020190
	v_mul_f32_e32 v128, s47, v128                              // 00000000848C: 0B01002F
	v_mul_f32_e32 v129, s47, v129                              // 000000008490: 0B03022F
	v_mfma_f32_16x16x16_f16 v[48:51], a[146:147], a[2:3], v[48:51]// 000000008494: D3CD0030 1CC20592
	ds_write_b32 v11, v44 offset:8704                          // 00000000849C: D81A2200 00002C0B
	ds_write_b32 v11, v45 offset:9760                          // 0000000084A4: D81A2620 00002D0B
	v_mfma_f32_16x16x16_f16 v[48:51], a[148:149], a[4:5], v[48:51]// 0000000084AC: D3CD0030 1CC20994
	v_mul_f32_e32 v130, s47, v130                              // 0000000084B4: 0B05042F
	v_mul_f32_e32 v131, s47, v131                              // 0000000084B8: 0B07062F
	v_mfma_f32_16x16x16_f16 v[48:51], a[150:151], a[6:7], v[48:51]// 0000000084BC: D3CD0030 1CC20D96
	ds_write_b32 v11, v46 offset:8832                          // 0000000084C4: D81A2280 00002E0B
	ds_write_b32 v11, v47 offset:9888                          // 0000000084CC: D81A26A0 00002F0B
	v_mfma_f32_16x16x16_f16 v[48:51], a[152:153], a[8:9], v[48:51]// 0000000084D4: D3CD0030 1CC21198
	v_mul_f32_e32 v132, s47, v132                              // 0000000084DC: 0B09082F
	v_mul_f32_e32 v133, s47, v133                              // 0000000084E0: 0B0B0A2F
	v_mfma_f32_16x16x16_f16 v[48:51], a[154:155], a[10:11], v[48:51]// 0000000084E4: D3CD0030 1CC2159A
	ds_write_b64 v20, v[128:129] offset:24320                  // 0000000084EC: D89A5F00 00008014
	v_mfma_f32_16x16x16_f16 v[48:51], a[156:157], a[12:13], v[48:51]// 0000000084F4: D3CD0030 1CC2199C
	v_mul_f32_e32 v134, s47, v134                              // 0000000084FC: 0B0D0C2F
	v_mul_f32_e32 v135, s47, v135                              // 000000008500: 0B0F0E2F
	v_mfma_f32_16x16x16_f16 v[48:51], a[158:159], a[14:15], v[48:51]// 000000008504: D3CD0030 1CC21D9E
	ds_write_b64 v20, v[130:131] offset:24832                  // 00000000850C: D89A6100 00008214
	v_mfma_f32_16x16x16_f16 v[52:55], a[144:145], a[16:17], 0  // 000000008514: D3CD0034 1A022190
	buffer_atomic_add_f32 v140, v7, s[32:35], 0 offen offset:256// 00000000851C: E1341100 80088C07
	v_mfma_f32_16x16x16_f16 v[52:55], a[146:147], a[18:19], v[52:55]// 000000008524: D3CD0034 1CD22592
	ds_write_b64 v20, v[132:133] offset:25344                  // 00000000852C: D89A6300 00008414
	v_mfma_f32_16x16x16_f16 v[52:55], a[148:149], a[20:21], v[52:55]// 000000008534: D3CD0034 1CD22994
	v_mfma_f32_16x16x16_f16 v[52:55], a[150:151], a[22:23], v[52:55]// 00000000853C: D3CD0034 1CD22D96
	ds_write_b64 v20, v[134:135] offset:25856                  // 000000008544: D89A6500 00008614
	v_mfma_f32_16x16x16_f16 v[52:55], a[152:153], a[24:25], v[52:55]// 00000000854C: D3CD0034 1CD23198
	buffer_atomic_add_f32 v141, v8, s[32:35], 0 offen offset:256// 000000008554: E1341100 80088D08
	v_mfma_f32_16x16x16_f16 v[52:55], a[154:155], a[26:27], v[52:55]// 00000000855C: D3CD0034 1CD2359A
	ds_read_b128 v[108:111], v12 offset:13056                  // 000000008564: D9FE3300 6C00000C
	ds_write_b32 v11, v36                                      // 00000000856C: D81A0000 0000240B
	v_mfma_f32_16x16x16_f16 v[52:55], a[156:157], a[28:29], v[52:55]// 000000008574: D3CD0034 1CD2399C
	v_mfma_f32_16x16x16_f16 v[52:55], a[158:159], a[30:31], v[52:55]// 00000000857C: D3CD0034 1CD23D9E
	v_mfma_f32_16x16x16_f16 v[56:59], a[144:145], a[32:33], 0  // 000000008584: D3CD0038 1A024190
	ds_read_b128 v[112:115], v12 offset:13568                  // 00000000858C: D9FE3500 7000000C
	ds_write_b32 v11, v37 offset:1056                          // 000000008594: D81A0420 0000250B
	v_mfma_f32_16x16x16_f16 v[56:59], a[146:147], a[34:35], v[56:59]// 00000000859C: D3CD0038 1CE24592
	buffer_atomic_add_f32 v142, v7, s[32:35], 0 offen offset:384// 0000000085A4: E1341180 80088E07
	v_mfma_f32_16x16x16_f16 v[56:59], a[148:149], a[36:37], v[56:59]// 0000000085AC: D3CD0038 1CE24994
	v_mfma_f32_16x16x16_f16 v[56:59], a[150:151], a[38:39], v[56:59]// 0000000085B4: D3CD0038 1CE24D96
	ds_read_b128 v[116:119], v12 offset:15232                  // 0000000085BC: D9FE3B80 7400000C
	ds_write_b32 v11, v38 offset:128                           // 0000000085C4: D81A0080 0000260B
	v_mfma_f32_16x16x16_f16 v[56:59], a[152:153], a[40:41], v[56:59]// 0000000085CC: D3CD0038 1CE25198
	v_mfma_f32_16x16x16_f16 v[56:59], a[154:155], a[42:43], v[56:59]// 0000000085D4: D3CD0038 1CE2559A
	buffer_atomic_add_f32 v143, v8, s[32:35], 0 offen offset:384// 0000000085DC: E1341180 80088F08
	v_mfma_f32_16x16x16_f16 v[56:59], a[156:157], a[44:45], v[56:59]// 0000000085E4: D3CD0038 1CE2599C
	ds_read_b128 v[120:123], v12 offset:15744                  // 0000000085EC: D9FE3D80 7800000C
	ds_write_b32 v11, v39 offset:1184                          // 0000000085F4: D81A04A0 0000270B
	v_mfma_f32_16x16x16_f16 v[56:59], a[158:159], a[46:47], v[56:59]// 0000000085FC: D3CD0038 1CE25D9E
	s_add_i32 s82, s59, s97                                    // 000000008604: 8152613B
	s_sub_i32 s82, s82, 1                                      // 000000008608: 81D28152
	s_add_i32 s81, s59, 16                                     // 00000000860C: 8151903B
	s_sub_i32 s81, s81, s98                                    // 000000008610: 81D16251
	s_add_i32 s81, s81, 1                                      // 000000008614: 81518151
	s_branch label_1213                                        // 000000008618: BF820000

000000000000861c <label_1213>:
	s_add_i32 s62, 0, s46                                      // 00000000861C: 813E2E80
	s_mul_i32 s62, s62, 16                                     // 000000008620: 923E903E
	s_add_i32 s62, s80, s62                                    // 000000008624: 813E3E50
	s_add_i32 s61, s62, 16                                     // 000000008628: 813D903E
	s_add_i32 s61, s61, 16                                     // 00000000862C: 813D903D
	s_cmp_lt_i32 s61, s81                                      // 000000008630: BF04513D
	s_cselect_b32 s60, 1, 0                                    // 000000008634: 853C8081
	s_sub_i32 s62, s62, 16                                     // 000000008638: 81BE903E
	s_cmp_gt_i32 s62, s82                                      // 00000000863C: BF02523E
	s_cselect_b32 s61, 1, 0                                    // 000000008640: 853D8081
	s_or_b32 s60, s60, s61                                     // 000000008644: 873C3D3C
	s_cmp_eq_i32 s60, 1                                        // 000000008648: BF00813C
	s_cbranch_scc1 label_12A6                                  // 00000000864C: BF850085
	s_add_i32 s61, s62, 32                                     // 000000008650: 813DA03E
	s_add_i32 s62, s62, 16                                     // 000000008654: 813E903E
	s_cmp_lt_i32 s62, s81                                      // 000000008658: BF04513E
	s_cselect_b32 s60, 1, 0                                    // 00000000865C: 853C8081
	s_cmp_gt_i32 s61, s82                                      // 000000008660: BF02523D
	s_cselect_b32 s61, 1, 0                                    // 000000008664: 853D8081
	s_or_b32 s60, s60, s61                                     // 000000008668: 873C3D3C
	s_cmp_eq_i32 s60, 1                                        // 00000000866C: BF00813C
	s_cbranch_scc1 label_1259                                  // 000000008670: BF85002F
	s_branch label_122A                                        // 000000008674: BF820000

0000000000008678 <label_122A>:
	s_add_i32 s62, 4, s46                                      // 000000008678: 813E2E84
	s_mul_i32 s62, s62, 16                                     // 00000000867C: 923E903E
	s_add_i32 s62, s80, s62                                    // 000000008680: 813E3E50
	s_add_i32 s61, s62, 16                                     // 000000008684: 813D903E
	s_add_i32 s61, s61, 16                                     // 000000008688: 813D903D
	s_cmp_lt_i32 s61, s81                                      // 00000000868C: BF04513D
	s_cselect_b32 s60, 1, 0                                    // 000000008690: 853C8081
	s_sub_i32 s62, s62, 16                                     // 000000008694: 81BE903E
	s_cmp_gt_i32 s62, s82                                      // 000000008698: BF02523E
	s_cselect_b32 s61, 1, 0                                    // 00000000869C: 853D8081
	s_or_b32 s60, s60, s61                                     // 0000000086A0: 873C3D3C
	s_cmp_eq_i32 s60, 1                                        // 0000000086A4: BF00813C
	s_cbranch_scc1 label_12F8                                  // 0000000086A8: BF8500C0
	s_add_i32 s61, s62, 32                                     // 0000000086AC: 813DA03E
	s_add_i32 s62, s62, 16                                     // 0000000086B0: 813E903E
	s_cmp_lt_i32 s62, s81                                      // 0000000086B4: BF04513E
	s_cselect_b32 s60, 1, 0                                    // 0000000086B8: 853C8081
	s_cmp_gt_i32 s61, s82                                      // 0000000086BC: BF02523D
	s_cselect_b32 s61, 1, 0                                    // 0000000086C0: 853D8081
	s_or_b32 s60, s60, s61                                     // 0000000086C4: 873C3D3C
	s_cmp_eq_i32 s60, 1                                        // 0000000086C8: BF00813C
	s_cbranch_scc1 label_12AB                                  // 0000000086CC: BF85006A
	s_branch label_1241                                        // 0000000086D0: BF820000

00000000000086d4 <label_1241>:
	s_add_i32 s62, 8, s46                                      // 0000000086D4: 813E2E88
	s_mul_i32 s62, s62, 16                                     // 0000000086D8: 923E903E
	s_add_i32 s62, s80, s62                                    // 0000000086DC: 813E3E50
	s_add_i32 s61, s62, 16                                     // 0000000086E0: 813D903E
	s_add_i32 s61, s61, 16                                     // 0000000086E4: 813D903D
	s_cmp_lt_i32 s61, s81                                      // 0000000086E8: BF04513D
	s_cselect_b32 s60, 1, 0                                    // 0000000086EC: 853C8081
	s_sub_i32 s62, s62, 16                                     // 0000000086F0: 81BE903E
	s_cmp_gt_i32 s62, s82                                      // 0000000086F4: BF02523E
	s_cselect_b32 s61, 1, 0                                    // 0000000086F8: 853D8081
	s_or_b32 s60, s60, s61                                     // 0000000086FC: 873C3D3C
	s_cmp_eq_i32 s60, 1                                        // 000000008700: BF00813C
	s_cbranch_scc1 label_134A                                  // 000000008704: BF8500FB
	s_add_i32 s61, s62, 32                                     // 000000008708: 813DA03E
	s_add_i32 s62, s62, 16                                     // 00000000870C: 813E903E
	s_cmp_lt_i32 s62, s81                                      // 000000008710: BF04513E
	s_cselect_b32 s60, 1, 0                                    // 000000008714: 853C8081
	s_cmp_gt_i32 s61, s82                                      // 000000008718: BF02523D
	s_cselect_b32 s61, 1, 0                                    // 00000000871C: 853D8081
	s_or_b32 s60, s60, s61                                     // 000000008720: 873C3D3C
	s_cmp_eq_i32 s60, 1                                        // 000000008724: BF00813C
	s_cbranch_scc1 label_12FD                                  // 000000008728: BF8500A5
	s_branch label_134F                                        // 00000000872C: BF8200F6

0000000000008730 <label_1259>:
	v_and_b32_e32 v28, 15, v0                                  // 000000008730: 2638008F
	v_add_u32_e32 v28, s62, v28                                // 000000008734: 6838383E
	v_lshrrev_b32_e32 v29, 4, v0                               // 000000008738: 203A0084
	v_lshlrev_b32_e32 v29, 2, v29                              // 00000000873C: 243A3A82
	v_add_i32 v29, 0, v29                                      // 000000008740: D29C001D 00023A80
	v_add_i32 v29, s59, v29                                    // 000000008748: D29C001D 00023A3B
	v_sub_i32 v29, v29, v28                                    // 000000008750: D29D001D 0002391D
	v_cmp_ge_i32_e64 vcc, v29, s98                             // 000000008758: D0C6006A 0000C51D
	v_sub_i32 v29, 0, v29                                      // 000000008760: D29D001D 00023A80
	v_cndmask_b32_e32 v48, v48, v151, vcc                      // 000000008768: 00612F30
	v_cmp_ge_i32_e64 vcc, v29, s97                             // 00000000876C: D0C6006A 0000C31D
	s_nop 1                                                    // 000000008774: BF800001
	v_cndmask_b32_e32 v48, v48, v151, vcc                      // 000000008778: 00612F30
	v_and_b32_e32 v28, 15, v0                                  // 00000000877C: 2638008F
	v_add_u32_e32 v28, s62, v28                                // 000000008780: 6838383E
	v_lshrrev_b32_e32 v29, 4, v0                               // 000000008784: 203A0084
	v_lshlrev_b32_e32 v29, 2, v29                              // 000000008788: 243A3A82
	v_add_i32 v29, 1, v29                                      // 00000000878C: D29C001D 00023A81
	v_add_i32 v29, s59, v29                                    // 000000008794: D29C001D 00023A3B
	v_sub_i32 v29, v29, v28                                    // 00000000879C: D29D001D 0002391D
	v_cmp_ge_i32_e64 vcc, v29, s98                             // 0000000087A4: D0C6006A 0000C51D
	v_sub_i32 v29, 0, v29                                      // 0000000087AC: D29D001D 00023A80
	v_cndmask_b32_e32 v49, v49, v151, vcc                      // 0000000087B4: 00632F31
	v_cmp_ge_i32_e64 vcc, v29, s97                             // 0000000087B8: D0C6006A 0000C31D
	s_nop 1                                                    // 0000000087C0: BF800001
	v_cndmask_b32_e32 v49, v49, v151, vcc                      // 0000000087C4: 00632F31
	v_and_b32_e32 v28, 15, v0                                  // 0000000087C8: 2638008F
	v_add_u32_e32 v28, s62, v28                                // 0000000087CC: 6838383E
	v_lshrrev_b32_e32 v29, 4, v0                               // 0000000087D0: 203A0084
	v_lshlrev_b32_e32 v29, 2, v29                              // 0000000087D4: 243A3A82
	v_add_i32 v29, 2, v29                                      // 0000000087D8: D29C001D 00023A82
	v_add_i32 v29, s59, v29                                    // 0000000087E0: D29C001D 00023A3B
	v_sub_i32 v29, v29, v28                                    // 0000000087E8: D29D001D 0002391D
	v_cmp_ge_i32_e64 vcc, v29, s98                             // 0000000087F0: D0C6006A 0000C51D
	v_sub_i32 v29, 0, v29                                      // 0000000087F8: D29D001D 00023A80
	v_cndmask_b32_e32 v50, v50, v151, vcc                      // 000000008800: 00652F32
	v_cmp_ge_i32_e64 vcc, v29, s97                             // 000000008804: D0C6006A 0000C31D
	s_nop 1                                                    // 00000000880C: BF800001
	v_cndmask_b32_e32 v50, v50, v151, vcc                      // 000000008810: 00652F32
	v_and_b32_e32 v28, 15, v0                                  // 000000008814: 2638008F
	v_add_u32_e32 v28, s62, v28                                // 000000008818: 6838383E
	v_lshrrev_b32_e32 v29, 4, v0                               // 00000000881C: 203A0084
	v_lshlrev_b32_e32 v29, 2, v29                              // 000000008820: 243A3A82
	v_add_i32 v29, 3, v29                                      // 000000008824: D29C001D 00023A83
	v_add_i32 v29, s59, v29                                    // 00000000882C: D29C001D 00023A3B
	v_sub_i32 v29, v29, v28                                    // 000000008834: D29D001D 0002391D
	v_cmp_ge_i32_e64 vcc, v29, s98                             // 00000000883C: D0C6006A 0000C51D
	v_sub_i32 v29, 0, v29                                      // 000000008844: D29D001D 00023A80
	v_cndmask_b32_e32 v51, v51, v151, vcc                      // 00000000884C: 00672F33
	v_cmp_ge_i32_e64 vcc, v29, s97                             // 000000008850: D0C6006A 0000C31D
	s_nop 1                                                    // 000000008858: BF800001
	v_cndmask_b32_e32 v51, v51, v151, vcc                      // 00000000885C: 00672F33
	s_branch label_122A                                        // 000000008860: BF82FF85

0000000000008864 <label_12A6>:
	v_mov_b32_e32 v48, v151                                    // 000000008864: 7E600397
	v_mov_b32_e32 v49, v151                                    // 000000008868: 7E620397
	v_mov_b32_e32 v50, v151                                    // 00000000886C: 7E640397
	v_mov_b32_e32 v51, v151                                    // 000000008870: 7E660397
	s_branch label_122A                                        // 000000008874: BF82FF80

0000000000008878 <label_12AB>:
	v_and_b32_e32 v28, 15, v0                                  // 000000008878: 2638008F
	v_add_u32_e32 v28, s62, v28                                // 00000000887C: 6838383E
	v_lshrrev_b32_e32 v29, 4, v0                               // 000000008880: 203A0084
	v_lshlrev_b32_e32 v29, 2, v29                              // 000000008884: 243A3A82
	v_add_i32 v29, 0, v29                                      // 000000008888: D29C001D 00023A80
	v_add_i32 v29, s59, v29                                    // 000000008890: D29C001D 00023A3B
	v_sub_i32 v29, v29, v28                                    // 000000008898: D29D001D 0002391D
	v_cmp_ge_i32_e64 vcc, v29, s98                             // 0000000088A0: D0C6006A 0000C51D
	v_sub_i32 v29, 0, v29                                      // 0000000088A8: D29D001D 00023A80
	v_cndmask_b32_e32 v52, v52, v151, vcc                      // 0000000088B0: 00692F34
	v_cmp_ge_i32_e64 vcc, v29, s97                             // 0000000088B4: D0C6006A 0000C31D
	s_nop 1                                                    // 0000000088BC: BF800001
	v_cndmask_b32_e32 v52, v52, v151, vcc                      // 0000000088C0: 00692F34
	v_and_b32_e32 v28, 15, v0                                  // 0000000088C4: 2638008F
	v_add_u32_e32 v28, s62, v28                                // 0000000088C8: 6838383E
	v_lshrrev_b32_e32 v29, 4, v0                               // 0000000088CC: 203A0084
	v_lshlrev_b32_e32 v29, 2, v29                              // 0000000088D0: 243A3A82
	v_add_i32 v29, 1, v29                                      // 0000000088D4: D29C001D 00023A81
	v_add_i32 v29, s59, v29                                    // 0000000088DC: D29C001D 00023A3B
	v_sub_i32 v29, v29, v28                                    // 0000000088E4: D29D001D 0002391D
	v_cmp_ge_i32_e64 vcc, v29, s98                             // 0000000088EC: D0C6006A 0000C51D
	v_sub_i32 v29, 0, v29                                      // 0000000088F4: D29D001D 00023A80
	v_cndmask_b32_e32 v53, v53, v151, vcc                      // 0000000088FC: 006B2F35
	v_cmp_ge_i32_e64 vcc, v29, s97                             // 000000008900: D0C6006A 0000C31D
	s_nop 1                                                    // 000000008908: BF800001
	v_cndmask_b32_e32 v53, v53, v151, vcc                      // 00000000890C: 006B2F35
	v_and_b32_e32 v28, 15, v0                                  // 000000008910: 2638008F
	v_add_u32_e32 v28, s62, v28                                // 000000008914: 6838383E
	v_lshrrev_b32_e32 v29, 4, v0                               // 000000008918: 203A0084
	v_lshlrev_b32_e32 v29, 2, v29                              // 00000000891C: 243A3A82
	v_add_i32 v29, 2, v29                                      // 000000008920: D29C001D 00023A82
	v_add_i32 v29, s59, v29                                    // 000000008928: D29C001D 00023A3B
	v_sub_i32 v29, v29, v28                                    // 000000008930: D29D001D 0002391D
	v_cmp_ge_i32_e64 vcc, v29, s98                             // 000000008938: D0C6006A 0000C51D
	v_sub_i32 v29, 0, v29                                      // 000000008940: D29D001D 00023A80
	v_cndmask_b32_e32 v54, v54, v151, vcc                      // 000000008948: 006D2F36
	v_cmp_ge_i32_e64 vcc, v29, s97                             // 00000000894C: D0C6006A 0000C31D
	s_nop 1                                                    // 000000008954: BF800001
	v_cndmask_b32_e32 v54, v54, v151, vcc                      // 000000008958: 006D2F36
	v_and_b32_e32 v28, 15, v0                                  // 00000000895C: 2638008F
	v_add_u32_e32 v28, s62, v28                                // 000000008960: 6838383E
	v_lshrrev_b32_e32 v29, 4, v0                               // 000000008964: 203A0084
	v_lshlrev_b32_e32 v29, 2, v29                              // 000000008968: 243A3A82
	v_add_i32 v29, 3, v29                                      // 00000000896C: D29C001D 00023A83
	v_add_i32 v29, s59, v29                                    // 000000008974: D29C001D 00023A3B
	v_sub_i32 v29, v29, v28                                    // 00000000897C: D29D001D 0002391D
	v_cmp_ge_i32_e64 vcc, v29, s98                             // 000000008984: D0C6006A 0000C51D
	v_sub_i32 v29, 0, v29                                      // 00000000898C: D29D001D 00023A80
	v_cndmask_b32_e32 v55, v55, v151, vcc                      // 000000008994: 006F2F37
	v_cmp_ge_i32_e64 vcc, v29, s97                             // 000000008998: D0C6006A 0000C31D
	s_nop 1                                                    // 0000000089A0: BF800001
	v_cndmask_b32_e32 v55, v55, v151, vcc                      // 0000000089A4: 006F2F37
	s_branch label_1241                                        // 0000000089A8: BF82FF4A

00000000000089ac <label_12F8>:
	v_mov_b32_e32 v52, v151                                    // 0000000089AC: 7E680397
	v_mov_b32_e32 v53, v151                                    // 0000000089B0: 7E6A0397
	v_mov_b32_e32 v54, v151                                    // 0000000089B4: 7E6C0397
	v_mov_b32_e32 v55, v151                                    // 0000000089B8: 7E6E0397
	s_branch label_1241                                        // 0000000089BC: BF82FF45

00000000000089c0 <label_12FD>:
	v_and_b32_e32 v28, 15, v0                                  // 0000000089C0: 2638008F
	v_add_u32_e32 v28, s62, v28                                // 0000000089C4: 6838383E
	v_lshrrev_b32_e32 v29, 4, v0                               // 0000000089C8: 203A0084
	v_lshlrev_b32_e32 v29, 2, v29                              // 0000000089CC: 243A3A82
	v_add_i32 v29, 0, v29                                      // 0000000089D0: D29C001D 00023A80
	v_add_i32 v29, s59, v29                                    // 0000000089D8: D29C001D 00023A3B
	v_sub_i32 v29, v29, v28                                    // 0000000089E0: D29D001D 0002391D
	v_cmp_ge_i32_e64 vcc, v29, s98                             // 0000000089E8: D0C6006A 0000C51D
	v_sub_i32 v29, 0, v29                                      // 0000000089F0: D29D001D 00023A80
	v_cndmask_b32_e32 v56, v56, v151, vcc                      // 0000000089F8: 00712F38
	v_cmp_ge_i32_e64 vcc, v29, s97                             // 0000000089FC: D0C6006A 0000C31D
	s_nop 1                                                    // 000000008A04: BF800001
	v_cndmask_b32_e32 v56, v56, v151, vcc                      // 000000008A08: 00712F38
	v_and_b32_e32 v28, 15, v0                                  // 000000008A0C: 2638008F
	v_add_u32_e32 v28, s62, v28                                // 000000008A10: 6838383E
	v_lshrrev_b32_e32 v29, 4, v0                               // 000000008A14: 203A0084
	v_lshlrev_b32_e32 v29, 2, v29                              // 000000008A18: 243A3A82
	v_add_i32 v29, 1, v29                                      // 000000008A1C: D29C001D 00023A81
	v_add_i32 v29, s59, v29                                    // 000000008A24: D29C001D 00023A3B
	v_sub_i32 v29, v29, v28                                    // 000000008A2C: D29D001D 0002391D
	v_cmp_ge_i32_e64 vcc, v29, s98                             // 000000008A34: D0C6006A 0000C51D
	v_sub_i32 v29, 0, v29                                      // 000000008A3C: D29D001D 00023A80
	v_cndmask_b32_e32 v57, v57, v151, vcc                      // 000000008A44: 00732F39
	v_cmp_ge_i32_e64 vcc, v29, s97                             // 000000008A48: D0C6006A 0000C31D
	s_nop 1                                                    // 000000008A50: BF800001
	v_cndmask_b32_e32 v57, v57, v151, vcc                      // 000000008A54: 00732F39
	v_and_b32_e32 v28, 15, v0                                  // 000000008A58: 2638008F
	v_add_u32_e32 v28, s62, v28                                // 000000008A5C: 6838383E
	v_lshrrev_b32_e32 v29, 4, v0                               // 000000008A60: 203A0084
	v_lshlrev_b32_e32 v29, 2, v29                              // 000000008A64: 243A3A82
	v_add_i32 v29, 2, v29                                      // 000000008A68: D29C001D 00023A82
	v_add_i32 v29, s59, v29                                    // 000000008A70: D29C001D 00023A3B
	v_sub_i32 v29, v29, v28                                    // 000000008A78: D29D001D 0002391D
	v_cmp_ge_i32_e64 vcc, v29, s98                             // 000000008A80: D0C6006A 0000C51D
	v_sub_i32 v29, 0, v29                                      // 000000008A88: D29D001D 00023A80
	v_cndmask_b32_e32 v58, v58, v151, vcc                      // 000000008A90: 00752F3A
	v_cmp_ge_i32_e64 vcc, v29, s97                             // 000000008A94: D0C6006A 0000C31D
	s_nop 1                                                    // 000000008A9C: BF800001
	v_cndmask_b32_e32 v58, v58, v151, vcc                      // 000000008AA0: 00752F3A
	v_and_b32_e32 v28, 15, v0                                  // 000000008AA4: 2638008F
	v_add_u32_e32 v28, s62, v28                                // 000000008AA8: 6838383E
	v_lshrrev_b32_e32 v29, 4, v0                               // 000000008AAC: 203A0084
	v_lshlrev_b32_e32 v29, 2, v29                              // 000000008AB0: 243A3A82
	v_add_i32 v29, 3, v29                                      // 000000008AB4: D29C001D 00023A83
	v_add_i32 v29, s59, v29                                    // 000000008ABC: D29C001D 00023A3B
	v_sub_i32 v29, v29, v28                                    // 000000008AC4: D29D001D 0002391D
	v_cmp_ge_i32_e64 vcc, v29, s98                             // 000000008ACC: D0C6006A 0000C51D
	v_sub_i32 v29, 0, v29                                      // 000000008AD4: D29D001D 00023A80
	v_cndmask_b32_e32 v59, v59, v151, vcc                      // 000000008ADC: 00772F3B
	v_cmp_ge_i32_e64 vcc, v29, s97                             // 000000008AE0: D0C6006A 0000C31D
	s_nop 1                                                    // 000000008AE8: BF800001
	v_cndmask_b32_e32 v59, v59, v151, vcc                      // 000000008AEC: 00772F3B
	s_branch label_134F                                        // 000000008AF0: BF820005

0000000000008af4 <label_134A>:
	v_mov_b32_e32 v56, v151                                    // 000000008AF4: 7E700397
	v_mov_b32_e32 v57, v151                                    // 000000008AF8: 7E720397
	v_mov_b32_e32 v58, v151                                    // 000000008AFC: 7E740397
	v_mov_b32_e32 v59, v151                                    // 000000008B00: 7E760397
	s_branch label_134F                                        // 000000008B04: BF820000

0000000000008b08 <label_134F>:
	s_cmp_lt_i32 s100, 0xc0                                    // 000000008B08: BF04FF64 000000C0
	s_cbranch_scc0 label_13A4                                  // 000000008B10: BF84004D
	s_cmp_le_i32 s100, 64                                      // 000000008B14: BF05C064
	s_cbranch_scc1 label_135B                                  // 000000008B18: BF850007
	s_cmp_le_i32 s100, 0x80                                    // 000000008B1C: BF05FF64 00000080
	s_cbranch_scc1 label_1373                                  // 000000008B24: BF850017
	s_cmp_lt_i32 s100, 0xc0                                    // 000000008B28: BF04FF64 000000C0
	s_cbranch_scc1 label_138B                                  // 000000008B30: BF85002C
	s_branch label_13A4                                        // 000000008B34: BF820044

0000000000008b38 <label_135B>:
	s_mov_b32 s60, 0                                           // 000000008B38: BEBC0080
	v_and_b32_e32 v28, 15, v0                                  // 000000008B3C: 2638008F
	v_add_u32_e64 v28, v28, s60                                // 000000008B40: D134001C 0000791C
	v_mul_i32_i24_e64 v29, s46, 16                             // 000000008B48: D106001D 0001202E
	v_add_u32_e32 v28, v28, v29                                // 000000008B50: 68383B1C
	v_cmp_lt_u32_e64 s[60:61], v28, s100                       // 000000008B54: D0C9003C 0000C91C
	s_nop 1                                                    // 000000008B5C: BF800001
	v_cndmask_b32_e64 v48, v151, v48, s[60:61]                 // 000000008B60: D1000030 00F26197
	v_cndmask_b32_e64 v49, v151, v49, s[60:61]                 // 000000008B68: D1000031 00F26397
	v_cndmask_b32_e64 v50, v151, v50, s[60:61]                 // 000000008B70: D1000032 00F26597
	v_cndmask_b32_e64 v51, v151, v51, s[60:61]                 // 000000008B78: D1000033 00F26797
	s_branch label_1386                                        // 000000008B80: BF820013

0000000000008b84 <label_1373>:
	s_mov_b32 s60, 64                                          // 000000008B84: BEBC00C0
	v_and_b32_e32 v28, 15, v0                                  // 000000008B88: 2638008F
	v_add_u32_e64 v28, v28, s60                                // 000000008B8C: D134001C 0000791C
	v_mul_i32_i24_e64 v29, s46, 16                             // 000000008B94: D106001D 0001202E
	v_add_u32_e32 v28, v28, v29                                // 000000008B9C: 68383B1C
	v_cmp_lt_u32_e64 s[60:61], v28, s100                       // 000000008BA0: D0C9003C 0000C91C
	s_nop 1                                                    // 000000008BA8: BF800001
	v_cndmask_b32_e64 v52, v151, v52, s[60:61]                 // 000000008BAC: D1000034 00F26997
	v_cndmask_b32_e64 v53, v151, v53, s[60:61]                 // 000000008BB4: D1000035 00F26B97
	v_cndmask_b32_e64 v54, v151, v54, s[60:61]                 // 000000008BBC: D1000036 00F26D97
	v_cndmask_b32_e64 v55, v151, v55, s[60:61]                 // 000000008BC4: D1000037 00F26F97
	s_branch label_139F                                        // 000000008BCC: BF820019

0000000000008bd0 <label_1386>:
	v_mov_b32_e32 v52, v151                                    // 000000008BD0: 7E680397
	v_mov_b32_e32 v53, v151                                    // 000000008BD4: 7E6A0397
	v_mov_b32_e32 v54, v151                                    // 000000008BD8: 7E6C0397
	v_mov_b32_e32 v55, v151                                    // 000000008BDC: 7E6E0397
	s_branch label_139F                                        // 000000008BE0: BF820014

0000000000008be4 <label_138B>:
	s_mov_b32 s60, 0x80                                        // 000000008BE4: BEBC00FF 00000080
	v_and_b32_e32 v28, 15, v0                                  // 000000008BEC: 2638008F
	v_add_u32_e64 v28, v28, s60                                // 000000008BF0: D134001C 0000791C
	v_mul_i32_i24_e64 v29, s46, 16                             // 000000008BF8: D106001D 0001202E
	v_add_u32_e32 v28, v28, v29                                // 000000008C00: 68383B1C
	v_cmp_lt_u32_e64 s[60:61], v28, s100                       // 000000008C04: D0C9003C 0000C91C
	s_nop 1                                                    // 000000008C0C: BF800001
	v_cndmask_b32_e64 v56, v151, v56, s[60:61]                 // 000000008C10: D1000038 00F27197
	v_cndmask_b32_e64 v57, v151, v57, s[60:61]                 // 000000008C18: D1000039 00F27397
	v_cndmask_b32_e64 v58, v151, v58, s[60:61]                 // 000000008C20: D100003A 00F27597
	v_cndmask_b32_e64 v59, v151, v59, s[60:61]                 // 000000008C28: D100003B 00F27797
	s_branch label_13A4                                        // 000000008C30: BF820005

0000000000008c34 <label_139F>:
	v_mov_b32_e32 v56, v151                                    // 000000008C34: 7E700397
	v_mov_b32_e32 v57, v151                                    // 000000008C38: 7E720397
	v_mov_b32_e32 v58, v151                                    // 000000008C3C: 7E740397
	v_mov_b32_e32 v59, v151                                    // 000000008C40: 7E760397
	s_branch label_13A4                                        // 000000008C44: BF820000

0000000000008c48 <label_13A4>:
	s_waitcnt lgkmcnt(8)                                       // 000000008C48: BF8CC87F
	s_barrier                                                  // 000000008C4C: BF8A0000
	v_mfma_f32_16x16x16_f16 v[72:75], v[92:93], a[96:97], 0    // 000000008C50: D3CD0048 1202C15C
	v_fma_f32 v48, v48, s57, -v124                             // 000000008C58: D1CB0030 85F07330
	v_fma_f32 v49, v49, s57, -v125                             // 000000008C60: D1CB0031 85F47331
	v_fma_f32 v50, v50, s57, -v126                             // 000000008C68: D1CB0032 85F87332
	v_mfma_f32_16x16x16_f16 v[72:75], v[94:95], a[98:99], v[72:75]// 000000008C70: D3CD0048 1522C55E
	ds_read_b128 a[144:147], v12 offset:4352                   // 000000008C78: DBFE1100 9000000C
	ds_read_b128 a[148:151], v12 offset:4864                   // 000000008C80: DBFE1300 9400000C
	v_mfma_f32_16x16x16_f16 v[72:75], v[96:97], a[100:101], v[72:75]// 000000008C88: D3CD0048 1522C960
	v_fma_f32 v51, v51, s57, -v127                             // 000000008C90: D1CB0033 85FC7333
	v_fma_f32 v52, v52, s57, -v124                             // 000000008C98: D1CB0034 85F07334
	v_fma_f32 v53, v53, s57, -v125                             // 000000008CA0: D1CB0035 85F47335
	v_mfma_f32_16x16x16_f16 v[72:75], v[98:99], a[102:103], v[72:75]// 000000008CA8: D3CD0048 1522CD62
	v_fma_f32 v54, v54, s57, -v126                             // 000000008CB0: D1CB0036 85F87336
	v_fma_f32 v55, v55, s57, -v127                             // 000000008CB8: D1CB0037 85FC7337
	v_fma_f32 v56, v56, s57, -v124                             // 000000008CC0: D1CB0038 85F07338
	v_mfma_f32_16x16x16_f16 v[72:75], v[100:101], a[104:105], v[72:75]// 000000008CC8: D3CD0048 1522D164
	v_fma_f32 v57, v57, s57, -v125                             // 000000008CD0: D1CB0039 85F47339
	v_fma_f32 v58, v58, s57, -v126                             // 000000008CD8: D1CB003A 85F8733A
	v_fma_f32 v59, v59, s57, -v127                             // 000000008CE0: D1CB003B 85FC733B
	v_mfma_f32_16x16x16_f16 v[72:75], v[102:103], a[106:107], v[72:75]// 000000008CE8: D3CD0048 1522D566
	ds_read_b128 a[152:155], v12 offset:6528                   // 000000008CF0: DBFE1980 9800000C
	ds_read_b128 a[156:159], v12 offset:7040                   // 000000008CF8: DBFE1B80 9C00000C
	v_mfma_f32_16x16x16_f16 v[72:75], v[104:105], a[108:109], v[72:75]// 000000008D00: D3CD0048 1522D968
	v_exp_f32_e32 v48, v48                                     // 000000008D08: 7E604130
	v_mfma_f32_16x16x16_f16 v[72:75], v[106:107], a[110:111], v[72:75]// 000000008D0C: D3CD0048 1522DD6A
	v_exp_f32_e32 v49, v49                                     // 000000008D14: 7E624131
	v_mfma_f32_16x16x16_f16 v[76:79], v[92:93], a[112:113], 0  // 000000008D18: D3CD004C 1202E15C
	v_exp_f32_e32 v50, v50                                     // 000000008D20: 7E644132
	v_mfma_f32_16x16x16_f16 v[76:79], v[94:95], a[114:115], v[76:79]// 000000008D24: D3CD004C 1532E55E
	ds_read_b64 v[136:137], v19 offset:24320                   // 000000008D2C: D8EC5F00 88000013
	ds_read_b64 v[138:139], v19 offset:26368                   // 000000008D34: D8EC6700 8A000013
	v_mfma_f32_16x16x16_f16 v[76:79], v[96:97], a[116:117], v[76:79]// 000000008D3C: D3CD004C 1532E960
	v_exp_f32_e32 v51, v51                                     // 000000008D44: 7E664133
	v_mfma_f32_16x16x16_f16 v[76:79], v[98:99], a[118:119], v[76:79]// 000000008D48: D3CD004C 1532ED62
	ds_read_b64 v[140:141], v19 offset:28416                   // 000000008D50: D8EC6F00 8C000013
	ds_read_b64 v[142:143], v19 offset:30464                   // 000000008D58: D8EC7700 8E000013
	v_mfma_f32_16x16x16_f16 v[76:79], v[100:101], a[120:121], v[76:79]// 000000008D60: D3CD004C 1532F164
	v_exp_f32_e32 v52, v52                                     // 000000008D68: 7E684134
	v_mfma_f32_16x16x16_f16 v[76:79], v[102:103], a[122:123], v[76:79]// 000000008D6C: D3CD004C 1532F566
	v_exp_f32_e32 v53, v53                                     // 000000008D74: 7E6A4135
	v_mfma_f32_16x16x16_f16 v[76:79], v[104:105], a[124:125], v[76:79]// 000000008D78: D3CD004C 1532F968
	v_exp_f32_e32 v54, v54                                     // 000000008D80: 7E6C4136
	v_mfma_f32_16x16x16_f16 v[76:79], v[106:107], a[126:127], v[76:79]// 000000008D84: D3CD004C 1532FD6A
	v_exp_f32_e32 v55, v55                                     // 000000008D8C: 7E6E4137
	v_mfma_f32_16x16x16_f16 v[80:83], v[92:93], a[128:129], 0  // 000000008D90: D3CD0050 1203015C
	v_exp_f32_e32 v56, v56                                     // 000000008D98: 7E704138
	v_mfma_f32_16x16x16_f16 v[80:83], v[94:95], a[130:131], v[80:83]// 000000008D9C: D3CD0050 1543055E
	v_exp_f32_e32 v57, v57                                     // 000000008DA4: 7E724139
	v_mfma_f32_16x16x16_f16 v[80:83], v[96:97], a[132:133], v[80:83]// 000000008DA8: D3CD0050 15430960
	v_exp_f32_e32 v58, v58                                     // 000000008DB0: 7E74413A
	v_mfma_f32_16x16x16_f16 v[80:83], v[98:99], a[134:135], v[80:83]// 000000008DB4: D3CD0050 15430D62
	v_exp_f32_e32 v59, v59                                     // 000000008DBC: 7E76413B
	v_mfma_f32_16x16x16_f16 v[80:83], v[100:101], a[136:137], v[80:83]// 000000008DC0: D3CD0050 15431164
	v_cvt_pkrtz_f16_f32 v144, v48, v49                         // 000000008DC8: D2960090 00026330
	v_cvt_pkrtz_f16_f32 v145, v50, v51                         // 000000008DD0: D2960091 00026732
	v_cvt_pkrtz_f16_f32 v146, v52, v53                         // 000000008DD8: D2960092 00026B34
	v_mfma_f32_16x16x16_f16 v[80:83], v[102:103], a[138:139], v[80:83]// 000000008DE0: D3CD0050 15431566
	v_cvt_pkrtz_f16_f32 v147, v54, v55                         // 000000008DE8: D2960093 00026F36
	v_cvt_pkrtz_f16_f32 v148, v56, v57                         // 000000008DF0: D2960094 00027338
	v_cvt_pkrtz_f16_f32 v149, v58, v59                         // 000000008DF8: D2960095 0002773A
	v_mfma_f32_16x16x16_f16 v[80:83], v[104:105], a[140:141], v[80:83]// 000000008E00: D3CD0050 15431968
	v_add_u32_e32 v7, s66, v7                                  // 000000008E08: 680E0E42
	v_add_u32_e32 v8, s66, v8                                  // 000000008E0C: 68101042
	v_mfma_f32_16x16x16_f16 v[80:83], v[106:107], a[142:143], v[80:83]// 000000008E10: D3CD0050 15431D6A
	s_waitcnt lgkmcnt(0)                                       // 000000008E18: BF8CC07F
	s_barrier                                                  // 000000008E1C: BF8A0000
	v_mfma_f32_16x16x16_f16 v[152:155], v[108:109], v[144:145], v[152:155]// 000000008E20: D3CD0098 0663216C
	v_subrev_f32_dpp v72, v150, v72 quad_perm:[0,0,0,0] row_mask:0xf bank_mask:0xf// 000000008E28: 069090FA FF000096
	v_subrev_f32_dpp v73, v150, v73 quad_perm:[1,1,1,1] row_mask:0xf bank_mask:0xf// 000000008E30: 069292FA FF005596
	v_subrev_f32_dpp v74, v150, v74 quad_perm:[2,2,2,2] row_mask:0xf bank_mask:0xf// 000000008E38: 069494FA FF00AA96
	v_mfma_f32_16x16x16_f16 v[156:159], v[110:111], v[144:145], v[156:159]// 000000008E40: D3CD009C 0673216E
	v_subrev_f32_dpp v75, v150, v75 quad_perm:[3,3,3,3] row_mask:0xf bank_mask:0xf// 000000008E48: 069696FA FF00FF96
	v_subrev_f32_dpp v76, v150, v76 quad_perm:[0,0,0,0] row_mask:0xf bank_mask:0xf// 000000008E50: 069898FA FF000096
	v_subrev_f32_dpp v77, v150, v77 quad_perm:[1,1,1,1] row_mask:0xf bank_mask:0xf// 000000008E58: 069A9AFA FF005596
	v_mfma_f32_16x16x16_f16 v[160:163], v[112:113], v[144:145], v[160:163]// 000000008E60: D3CD00A0 06832170
	v_mul_f32_e32 v72, v48, v72                                // 000000008E68: 0A909130
	v_mul_f32_e32 v73, v49, v73                                // 000000008E6C: 0A929331
	v_mul_f32_e32 v74, v50, v74                                // 000000008E70: 0A949532
	v_mfma_f32_16x16x16_f16 v[164:167], v[114:115], v[144:145], v[164:167]// 000000008E74: D3CD00A4 06932172
	v_mul_f32_e32 v75, v51, v75                                // 000000008E7C: 0A969733
	v_mul_f32_e32 v76, v52, v76                                // 000000008E80: 0A989934
	v_mul_f32_e32 v77, v53, v77                                // 000000008E84: 0A9A9B35
	v_mfma_f32_16x16x16_f16 v[168:171], v[116:117], v[144:145], v[168:171]// 000000008E88: D3CD00A8 06A32174
	v_cvt_pkrtz_f16_f32 v72, v72, v73                          // 000000008E90: D2960048 00029348
	v_cvt_pkrtz_f16_f32 v73, v74, v75                          // 000000008E98: D2960049 0002974A
	v_cvt_pkrtz_f16_f32 v74, v76, v77                          // 000000008EA0: D296004A 00029B4C
	v_mfma_f32_16x16x16_f16 v[172:175], v[118:119], v[144:145], v[172:175]// 000000008EA8: D3CD00AC 06B32176
	v_mov_b32_dpp v16, v72 quad_perm:[1,0,3,2] row_mask:0xf bank_mask:0xf// 000000008EB0: 7E2002FA FF00B148
	v_perm_b32 v48, v16, v72, v15                              // 000000008EB8: D1ED0030 043E9110
	v_mov_b32_dpp v16, v73 quad_perm:[1,0,3,2] row_mask:0xf bank_mask:0xf// 000000008EC0: 7E2002FA FF00B149
	v_mfma_f32_16x16x16_f16 v[176:179], v[120:121], v[144:145], v[176:179]// 000000008EC8: D3CD00B0 06C32178
	ds_write_b32 v18, v48 offset:17408                         // 000000008ED0: D81A4400 00003012
	v_mfma_f32_16x16x16_f16 v[180:183], v[122:123], v[144:145], v[180:183]// 000000008ED8: D3CD00B4 06D3217A
	v_perm_b32 v49, v16, v73, v15                              // 000000008EE0: D1ED0031 043E9310
	v_mov_b32_dpp v16, v74 quad_perm:[1,0,3,2] row_mask:0xf bank_mask:0xf// 000000008EE8: 7E2002FA FF00B14A
	v_perm_b32 v50, v16, v74, v15                              // 000000008EF0: D1ED0032 043E9510
	v_mfma_f32_16x16x16_f16 v[184:187], v[108:109], v[146:147], v[184:187]// 000000008EF8: D3CD00B8 06E3256C
	ds_write_b32 v18, v49 offset:17952                         // 000000008F00: D81A4620 00003112
	v_mfma_f32_16x16x16_f16 v[188:191], v[110:111], v[146:147], v[188:191]// 000000008F08: D3CD00BC 06F3256E
	v_subrev_f32_dpp v78, v150, v78 quad_perm:[2,2,2,2] row_mask:0xf bank_mask:0xf// 000000008F10: 069C9CFA FF00AA96
	v_subrev_f32_dpp v79, v150, v79 quad_perm:[3,3,3,3] row_mask:0xf bank_mask:0xf// 000000008F18: 069E9EFA FF00FF96
	v_subrev_f32_dpp v80, v150, v80 quad_perm:[0,0,0,0] row_mask:0xf bank_mask:0xf// 000000008F20: 06A0A0FA FF000096
	v_mfma_f32_16x16x16_f16 v[192:195], v[112:113], v[146:147], v[192:195]// 000000008F28: D3CD00C0 07032570
	ds_write_b32 v18, v50 offset:19712                         // 000000008F30: D81A4D00 00003212
	v_mfma_f32_16x16x16_f16 v[196:199], v[114:115], v[146:147], v[196:199]// 000000008F38: D3CD00C4 07132572
	v_subrev_f32_dpp v81, v150, v81 quad_perm:[1,1,1,1] row_mask:0xf bank_mask:0xf// 000000008F40: 06A2A2FA FF005596
	v_subrev_f32_dpp v82, v150, v82 quad_perm:[2,2,2,2] row_mask:0xf bank_mask:0xf// 000000008F48: 06A4A4FA FF00AA96
	v_subrev_f32_dpp v83, v150, v83 quad_perm:[3,3,3,3] row_mask:0xf bank_mask:0xf// 000000008F50: 06A6A6FA FF00FF96
	v_mfma_f32_16x16x16_f16 v[200:203], v[116:117], v[146:147], v[200:203]// 000000008F58: D3CD00C8 07232574
	v_mul_f32_e32 v78, v54, v78                                // 000000008F60: 0A9C9D36
	v_mul_f32_e32 v79, v55, v79                                // 000000008F64: 0A9E9F37
	v_mul_f32_e32 v80, v56, v80                                // 000000008F68: 0AA0A138
	v_mfma_f32_16x16x16_f16 v[204:207], v[118:119], v[146:147], v[204:207]// 000000008F6C: D3CD00CC 07332576
	v_mul_f32_e32 v81, v57, v81                                // 000000008F74: 0AA2A339
	v_mul_f32_e32 v82, v58, v82                                // 000000008F78: 0AA4A53A
	v_mul_f32_e32 v83, v59, v83                                // 000000008F7C: 0AA6A73B
	v_mfma_f32_16x16x16_f16 v[208:211], v[120:121], v[146:147], v[208:211]// 000000008F80: D3CD00D0 07432578
	v_cvt_pkrtz_f16_f32 v75, v78, v79                          // 000000008F88: D296004B 00029F4E
	v_cvt_pkrtz_f16_f32 v76, v80, v81                          // 000000008F90: D296004C 0002A350
	v_cvt_pkrtz_f16_f32 v77, v82, v83                          // 000000008F98: D296004D 0002A752
	v_mfma_f32_16x16x16_f16 v[212:215], v[122:123], v[146:147], v[212:215]// 000000008FA0: D3CD00D4 0753257A
	v_mov_b32_dpp v16, v75 quad_perm:[1,0,3,2] row_mask:0xf bank_mask:0xf// 000000008FA8: 7E2002FA FF00B14B
	v_perm_b32 v51, v16, v75, v15                              // 000000008FB0: D1ED0033 043E9710
	v_mov_b32_dpp v16, v76 quad_perm:[1,0,3,2] row_mask:0xf bank_mask:0xf// 000000008FB8: 7E2002FA FF00B14C
	v_mfma_f32_16x16x16_f16 v[216:219], v[108:109], v[148:149], v[216:219]// 000000008FC0: D3CD00D8 0763296C
	ds_write_b32 v18, v51 offset:20256                         // 000000008FC8: D81A4F20 00003312
	v_mfma_f32_16x16x16_f16 v[220:223], v[110:111], v[148:149], v[220:223]// 000000008FD0: D3CD00DC 0773296E
	v_perm_b32 v52, v16, v76, v15                              // 000000008FD8: D1ED0034 043E9910
	v_mov_b32_dpp v16, v77 quad_perm:[1,0,3,2] row_mask:0xf bank_mask:0xf// 000000008FE0: 7E2002FA FF00B14D
	v_perm_b32 v53, v16, v77, v15                              // 000000008FE8: D1ED0035 043E9B10
	v_mfma_f32_16x16x16_f16 v[224:227], v[112:113], v[148:149], v[224:227]// 000000008FF0: D3CD00E0 07832970
	ds_write_b32 v18, v52 offset:22016                         // 000000008FF8: D81A5600 00003412
	ds_write_b32 v18, v53 offset:22560                         // 000000009000: D81A5820 00003512
	v_mfma_f32_16x16x16_f16 v[228:231], v[114:115], v[148:149], v[228:231]// 000000009008: D3CD00E4 07932972
	v_mfma_f32_16x16x16_f16 v[232:235], v[116:117], v[148:149], v[232:235]// 000000009010: D3CD00E8 07A32974
	ds_write_b32 v13, v84 offset:4352                          // 000000009018: D81A1100 0000540D
	ds_write_b32 v13, v85 offset:5408                          // 000000009020: D81A1520 0000550D
	v_mfma_f32_16x16x16_f16 v[236:239], v[118:119], v[148:149], v[236:239]// 000000009028: D3CD00EC 07B32976
	v_mfma_f32_16x16x16_f16 v[240:243], v[120:121], v[148:149], v[240:243]// 000000009030: D3CD00F0 07C32978
	ds_write_b32 v13, v86 offset:4480                          // 000000009038: D81A1180 0000560D
	ds_write_b32 v13, v87 offset:5536                          // 000000009040: D81A15A0 0000570D
	v_mfma_f32_16x16x16_f16 v[244:247], v[122:123], v[148:149], v[244:247]// 000000009048: D3CD00F4 07D3297A
	s_nop 0                                                    // 000000009050: BF800000
	s_nop 0                                                    // 000000009054: BF800000
	;; [unrolled: 1-line block ×3, first 2 shown]
	s_barrier                                                  // 00000000905C: BF8A0000
	v_mfma_f32_16x16x16_f16 a[160:163], a[144:145], v[72:73], a[160:163]// 000000009060: D3CD80A0 0E829190
	ds_read_b32 v124, v21 offset:51200                         // 000000009068: D86CC800 7C000015
	ds_read_b32 v150, v21 offset:51456                         // 000000009070: D86CC900 96000015
	v_mfma_f32_16x16x16_f16 a[164:167], a[146:147], v[72:73], a[164:167]// 000000009078: D3CD80A4 0E929192
	buffer_atomic_add_f32 v136, v7, s[32:35], 0 offen          // 000000009080: E1341000 80088807
	v_mfma_f32_16x16x16_f16 a[168:171], a[148:149], v[72:73], a[168:171]// 000000009088: D3CD80A8 0EA29194
	s_waitcnt lgkmcnt(6)                                       // 000000009090: BF8CC67F
	s_barrier                                                  // 000000009094: BF8A0000
	v_mfma_f32_16x16x16_f16 a[172:175], a[150:151], v[72:73], a[172:175]// 000000009098: D3CD80AC 0EB29196
	v_mfma_f32_16x16x16_f16 a[176:179], a[152:153], v[72:73], a[176:179]// 0000000090A0: D3CD80B0 0EC29198
	ds_read_b128 v[48:51], v17 offset:17408                    // 0000000090A8: D9FE4400 30000011
	v_mfma_f32_16x16x16_f16 a[180:183], a[154:155], v[72:73], a[180:183]// 0000000090B0: D3CD80B4 0ED2919A
	v_mfma_f32_16x16x16_f16 a[184:187], a[156:157], v[72:73], a[184:187]// 0000000090B8: D3CD80B8 0EE2919C
	ds_read_b128 v[52:55], v17 offset:18560                    // 0000000090C0: D9FE4880 34000011
	v_mfma_f32_16x16x16_f16 a[188:191], a[158:159], v[72:73], a[188:191]// 0000000090C8: D3CD80BC 0EF2919E
	buffer_atomic_add_f32 v137, v8, s[32:35], 0 offen          // 0000000090D0: E1341000 80088908
	v_mfma_f32_16x16x16_f16 a[192:195], a[144:145], v[74:75], a[192:195]// 0000000090D8: D3CD80C0 0F029590
	ds_read_b128 v[56:59], v17 offset:19712                    // 0000000090E0: D9FE4D00 38000011
	v_mfma_f32_16x16x16_f16 a[196:199], a[146:147], v[74:75], a[196:199]// 0000000090E8: D3CD80C4 0F129592
	v_mfma_f32_16x16x16_f16 a[200:203], a[148:149], v[74:75], a[200:203]// 0000000090F0: D3CD80C8 0F229594
	ds_read_b128 v[60:63], v17 offset:20864                    // 0000000090F8: D9FE5180 3C000011
	v_mfma_f32_16x16x16_f16 a[204:207], a[150:151], v[74:75], a[204:207]// 000000009100: D3CD80CC 0F329596
	v_mfma_f32_16x16x16_f16 a[208:211], a[152:153], v[74:75], a[208:211]// 000000009108: D3CD80D0 0F429598
	ds_read_b128 v[64:67], v17 offset:22016                    // 000000009110: D9FE5600 40000011
	v_mfma_f32_16x16x16_f16 a[212:215], a[154:155], v[74:75], a[212:215]// 000000009118: D3CD80D4 0F52959A
	buffer_atomic_add_f32 v138, v7, s[32:35], 0 offen offset:128// 000000009120: E1341080 80088A07
	v_mfma_f32_16x16x16_f16 a[216:219], a[156:157], v[74:75], a[216:219]// 000000009128: D3CD80D8 0F62959C
	ds_read_b128 v[68:71], v17 offset:23168                    // 000000009130: D9FE5A80 44000011
	v_mfma_f32_16x16x16_f16 a[220:223], a[158:159], v[74:75], a[220:223]// 000000009138: D3CD80DC 0F72959E
	v_mfma_f32_16x16x16_f16 a[224:227], a[144:145], v[76:77], a[224:227]// 000000009140: D3CD80E0 0F829990
	ds_write_b32 v13, v88 offset:13056                         // 000000009148: D81A3300 0000580D
	v_mfma_f32_16x16x16_f16 a[228:231], a[146:147], v[76:77], a[228:231]// 000000009150: D3CD80E4 0F929992
	v_mfma_f32_16x16x16_f16 a[232:235], a[148:149], v[76:77], a[232:235]// 000000009158: D3CD80E8 0FA29994
	ds_write_b32 v13, v89 offset:14112                         // 000000009160: D81A3720 0000590D
	v_mfma_f32_16x16x16_f16 a[236:239], a[150:151], v[76:77], a[236:239]// 000000009168: D3CD80EC 0FB29996
	buffer_atomic_add_f32 v139, v8, s[32:35], 0 offen offset:128// 000000009170: E1341080 80088B08
	v_mfma_f32_16x16x16_f16 a[240:243], a[152:153], v[76:77], a[240:243]// 000000009178: D3CD80F0 0FC29998
	ds_write_b32 v13, v90 offset:13184                         // 000000009180: D81A3380 00005A0D
	v_mfma_f32_16x16x16_f16 a[244:247], a[154:155], v[76:77], a[244:247]// 000000009188: D3CD80F4 0FD2999A
	v_mfma_f32_16x16x16_f16 a[248:251], a[156:157], v[76:77], a[248:251]// 000000009190: D3CD80F8 0FE2999C
	ds_write_b32 v13, v91 offset:14240                         // 000000009198: D81A37A0 00005B0D
	v_mfma_f32_16x16x16_f16 a[252:255], a[158:159], v[76:77], a[252:255]// 0000000091A0: D3CD80FC 0FF2999E
	s_waitcnt vmcnt(8) lgkmcnt(4)                              // 0000000091A8: BF8C0478
	s_barrier                                                  // 0000000091AC: BF8A0000
	v_mfma_f32_16x16x16_f16 v[128:131], v[48:49], a[48:49], 0  // 0000000091B0: D3CD0080 12026130
	ds_read_b128 a[144:147], v10                               // 0000000091B8: DBFE0000 9000000A
	v_mov_b32_e32 v36, 0                                       // 0000000091C0: 7E480280
	s_mov_b64 exec, s[86:87]                                   // 0000000091C4: BEFE0156
	buffer_load_dword v36, v1, s[8:11], 0 idxen                // 0000000091C8: E0502000 80022401
	s_mov_b64 exec, s[84:85]                                   // 0000000091D0: BEFE0154
	v_mfma_f32_16x16x16_f16 v[128:131], v[50:51], a[52:53], v[128:131]// 0000000091D4: D3CD0080 16026932
	v_cmp_eq_u32_e32 vcc, v124, v151                           // 0000000091DC: 7D952F7C
	v_mov_b32_e32 v28, 0                                       // 0000000091E0: 7E380280
	v_cndmask_b32_e32 v124, v124, v28, vcc                     // 0000000091E4: 00F8397C
	v_mul_f32_e32 v124, s48, v124                              // 0000000091E8: 0AF8F830
	s_nop 0                                                    // 0000000091EC: BF800000
	v_mfma_f32_16x16x16_f16 v[128:131], v[52:53], a[56:57], v[128:131]// 0000000091F0: D3CD0080 16027134
	ds_read_b128 a[148:151], v10 offset:512                    // 0000000091F8: DBFE0200 9400000A
	v_mov_b32_e32 v37, 0                                       // 000000009200: 7E4A0280
	s_mov_b64 exec, s[86:87]                                   // 000000009204: BEFE0156
	buffer_load_dword v37, v2, s[8:11], 0 idxen                // 000000009208: E0502000 80022502
	s_mov_b64 exec, s[84:85]                                   // 000000009210: BEFE0154
	v_mfma_f32_16x16x16_f16 v[128:131], v[54:55], a[60:61], v[128:131]// 000000009214: D3CD0080 16027936
	v_mfma_f32_16x16x16_f16 v[128:131], v[56:57], a[64:65], v[128:131]// 00000000921C: D3CD0080 16028138
	ds_read_b128 a[152:155], v10 offset:2176                   // 000000009224: DBFE0880 9800000A
	v_mov_b32_e32 v38, 0                                       // 00000000922C: 7E4C0280
	s_mov_b64 exec, s[86:87]                                   // 000000009230: BEFE0156
	buffer_load_dword v38, v3, s[8:11], 0 idxen                // 000000009234: E0502000 80022603
	s_mov_b64 exec, s[84:85]                                   // 00000000923C: BEFE0154
	v_mfma_f32_16x16x16_f16 v[128:131], v[58:59], a[68:69], v[128:131]// 000000009240: D3CD0080 1602893A
	v_perm_b32 v84, v33, v32, s63                              // 000000009248: D1ED0054 00FE4121
	v_perm_b32 v85, v33, v32, s64                              // 000000009250: D1ED0055 01024121
	v_mfma_f32_16x16x16_f16 v[128:131], v[60:61], a[72:73], v[128:131]// 000000009258: D3CD0080 1602913C
	ds_read_b128 a[156:159], v10 offset:2688                   // 000000009260: DBFE0A80 9C00000A
	v_mov_b32_e32 v39, 0                                       // 000000009268: 7E4E0280
	s_mov_b64 exec, s[86:87]                                   // 00000000926C: BEFE0156
	buffer_load_dword v39, v4, s[8:11], 0 idxen                // 000000009270: E0502000 80022704
	s_mov_b64 exec, s[84:85]                                   // 000000009278: BEFE0154
	v_mfma_f32_16x16x16_f16 v[128:131], v[62:63], a[76:77], v[128:131]// 00000000927C: D3CD0080 1602993E
	v_perm_b32 v86, v35, v34, s63                              // 000000009284: D1ED0056 00FE4523
	v_perm_b32 v87, v35, v34, s64                              // 00000000928C: D1ED0057 01024523
	v_mfma_f32_16x16x16_f16 v[128:131], v[64:65], a[80:81], v[128:131]// 000000009294: D3CD0080 1602A140
	ds_read_b128 v[92:95], v10 offset:8704                     // 00000000929C: D9FE2200 5C00000A
	v_mov_b32_e32 v44, 0                                       // 0000000092A4: 7E580280
	s_mov_b64 exec, s[86:87]                                   // 0000000092A8: BEFE0156
	buffer_load_dword v44, v248, s[20:23], 0 idxen             // 0000000092AC: E0502000 80052CF8
	s_mov_b64 exec, s[84:85]                                   // 0000000092B4: BEFE0154
	v_mfma_f32_16x16x16_f16 v[128:131], v[66:67], a[84:85], v[128:131]// 0000000092B8: D3CD0080 1602A942
	v_perm_b32 v88, v41, v40, s63                              // 0000000092C0: D1ED0058 00FE5129
	v_perm_b32 v89, v41, v40, s64                              // 0000000092C8: D1ED0059 01025129
	v_mfma_f32_16x16x16_f16 v[128:131], v[68:69], a[88:89], v[128:131]// 0000000092D0: D3CD0080 1602B144
	ds_read_b128 v[96:99], v10 offset:9216                     // 0000000092D8: D9FE2400 6000000A
	v_mov_b32_e32 v45, 0                                       // 0000000092E0: 7E5A0280
	s_mov_b64 exec, s[86:87]                                   // 0000000092E4: BEFE0156
	buffer_load_dword v45, v249, s[20:23], 0 idxen             // 0000000092E8: E0502000 80052DF9
	s_mov_b64 exec, s[84:85]                                   // 0000000092F0: BEFE0154
	v_mfma_f32_16x16x16_f16 v[128:131], v[70:71], a[92:93], v[128:131]// 0000000092F4: D3CD0080 1602B946
	v_perm_b32 v90, v43, v42, s63                              // 0000000092FC: D1ED005A 00FE552B
	v_perm_b32 v91, v43, v42, s64                              // 000000009304: D1ED005B 0102552B
	v_mfma_f32_16x16x16_f16 v[132:135], v[48:49], a[50:51], 0  // 00000000930C: D3CD0084 12026530
	ds_read_b128 v[100:103], v10 offset:10880                  // 000000009314: D9FE2A80 6400000A
	v_mov_b32_e32 v46, 0                                       // 00000000931C: 7E5C0280
	s_mov_b64 exec, s[86:87]                                   // 000000009320: BEFE0156
	buffer_load_dword v46, v250, s[20:23], 0 idxen             // 000000009324: E0502000 80052EFA
	s_mov_b64 exec, s[84:85]                                   // 00000000932C: BEFE0154
	v_mfma_f32_16x16x16_f16 v[132:135], v[50:51], a[54:55], v[132:135]// 000000009330: D3CD0084 16126D32
	v_mov_b32_dpp v127, v124 quad_perm:[3,3,3,3] row_mask:0xf bank_mask:0xf// 000000009338: 7EFE02FA FF00FF7C
	v_mov_b32_dpp v126, v124 quad_perm:[2,2,2,2] row_mask:0xf bank_mask:0xf// 000000009340: 7EFC02FA FF00AA7C
	v_mfma_f32_16x16x16_f16 v[132:135], v[52:53], a[58:59], v[132:135]// 000000009348: D3CD0084 16127534
	ds_read_b128 v[104:107], v10 offset:11392                  // 000000009350: D9FE2C80 6800000A
	v_mov_b32_e32 v47, 0                                       // 000000009358: 7E5E0280
	s_mov_b64 exec, s[86:87]                                   // 00000000935C: BEFE0156
	buffer_load_dword v47, v251, s[20:23], 0 idxen             // 000000009360: E0502000 80052FFB
	s_mov_b64 exec, s[84:85]                                   // 000000009368: BEFE0154
	v_mfma_f32_16x16x16_f16 v[132:135], v[54:55], a[62:63], v[132:135]// 00000000936C: D3CD0084 16127D36
	v_mov_b32_dpp v125, v124 quad_perm:[1,1,1,1] row_mask:0xf bank_mask:0xf// 000000009374: 7EFA02FA FF00557C
	v_mov_b32_dpp v124, v124 quad_perm:[0,0,0,0] row_mask:0xf bank_mask:0xf// 00000000937C: 7EF802FA FF00007C
	s_add_u32 s60, 64, s59                                     // 000000009384: 803C3BC0
	v_mfma_f32_16x16x16_f16 v[132:135], v[56:57], a[66:67], v[132:135]// 000000009388: D3CD0084 16128538
	buffer_load_dword v9, s[24:27], 0 idxen lds                // 000000009390: E0512000 80060009
	v_mfma_f32_16x16x16_f16 v[132:135], v[58:59], a[70:71], v[132:135]// 000000009398: D3CD0084 16128D3A
	s_cmp_lt_u32 s60, s58                                      // 0000000093A0: BF0A3A3C
	s_cselect_b32 s68, s68, 0                                  // 0000000093A4: 85448044
	s_cselect_b32 s95, s95, 0                                  // 0000000093A8: 855F805F
	s_cselect_b32 s69, s69, 0                                  // 0000000093AC: 85458045
	v_mfma_f32_16x16x16_f16 v[132:135], v[60:61], a[74:75], v[132:135]// 0000000093B0: D3CD0084 1612953C
	v_add_u32_e32 v1, s68, v1                                  // 0000000093B8: 68020244
	v_add_u32_e32 v2, s68, v2                                  // 0000000093BC: 68040444
	v_add_u32_e32 v3, s68, v3                                  // 0000000093C0: 68060644
	v_add_u32_e32 v4, s68, v4                                  // 0000000093C4: 68080844
	v_mfma_f32_16x16x16_f16 v[132:135], v[62:63], a[78:79], v[132:135]// 0000000093C8: D3CD0084 16129D3E
	v_add_u32_e32 v248, s95, v248                              // 0000000093D0: 69F1F05F
	v_add_u32_e32 v249, s95, v249                              // 0000000093D4: 69F3F25F
	v_add_u32_e32 v250, s95, v250                              // 0000000093D8: 69F5F45F
	v_add_u32_e32 v251, s95, v251                              // 0000000093DC: 69F7F65F
	v_mfma_f32_16x16x16_f16 v[132:135], v[64:65], a[82:83], v[132:135]// 0000000093E0: D3CD0084 1612A540
	s_mov_b32 m0, s74                                          // 0000000093E8: BEFC004A
	v_add_u32_e32 v9, s69, v9                                  // 0000000093EC: 68121245
	v_mfma_f32_16x16x16_f16 v[132:135], v[66:67], a[86:87], v[132:135]// 0000000093F0: D3CD0084 1612AD42
	s_cmp_ge_u32 s59, s99                                      // 0000000093F8: BF09633B
	s_cselect_b32 s66, s67, s66                                // 0000000093FC: 85424243
	v_mfma_f32_16x16x16_f16 v[132:135], v[68:69], a[90:91], v[132:135]// 000000009400: D3CD0084 1612B544
	s_addk_i32 s59, 0x10                                       // 000000009408: B73B0010
	s_nop 0                                                    // 00000000940C: BF800000
	s_cmp_lt_i32 s59, s58                                      // 000000009410: BF043A3B
	v_mfma_f32_16x16x16_f16 v[132:135], v[70:71], a[94:95], v[132:135]// 000000009414: D3CD0084 1612BD46
	s_cbranch_scc0 label_11A8                                  // 00000000941C: BF84FC14
	s_waitcnt lgkmcnt(0)                                       // 000000009420: BF8CC07F
	s_barrier                                                  // 000000009424: BF8A0000
	v_mfma_f32_16x16x16_f16 v[48:51], a[144:145], a[0:1], 0    // 000000009428: D3CD0030 1A020190
	v_mul_f32_e32 v128, s47, v128                              // 000000009430: 0B01002F
	v_mul_f32_e32 v129, s47, v129                              // 000000009434: 0B03022F
	v_mfma_f32_16x16x16_f16 v[48:51], a[146:147], a[2:3], v[48:51]// 000000009438: D3CD0030 1CC20592
	ds_write_b32 v11, v40 offset:8704                          // 000000009440: D81A2200 0000280B
	ds_write_b32 v11, v41 offset:9760                          // 000000009448: D81A2620 0000290B
	v_mfma_f32_16x16x16_f16 v[48:51], a[148:149], a[4:5], v[48:51]// 000000009450: D3CD0030 1CC20994
	v_mul_f32_e32 v130, s47, v130                              // 000000009458: 0B05042F
	v_mul_f32_e32 v131, s47, v131                              // 00000000945C: 0B07062F
	v_mfma_f32_16x16x16_f16 v[48:51], a[150:151], a[6:7], v[48:51]// 000000009460: D3CD0030 1CC20D96
	ds_write_b32 v11, v42 offset:8832                          // 000000009468: D81A2280 00002A0B
	ds_write_b32 v11, v43 offset:9888                          // 000000009470: D81A26A0 00002B0B
	v_mfma_f32_16x16x16_f16 v[48:51], a[152:153], a[8:9], v[48:51]// 000000009478: D3CD0030 1CC21198
	v_mul_f32_e32 v132, s47, v132                              // 000000009480: 0B09082F
	v_mul_f32_e32 v133, s47, v133                              // 000000009484: 0B0B0A2F
	v_mfma_f32_16x16x16_f16 v[48:51], a[154:155], a[10:11], v[48:51]// 000000009488: D3CD0030 1CC2159A
	ds_write_b64 v20, v[128:129] offset:24320                  // 000000009490: D89A5F00 00008014
	v_mfma_f32_16x16x16_f16 v[48:51], a[156:157], a[12:13], v[48:51]// 000000009498: D3CD0030 1CC2199C
	v_mul_f32_e32 v134, s47, v134                              // 0000000094A0: 0B0D0C2F
	v_mul_f32_e32 v135, s47, v135                              // 0000000094A4: 0B0F0E2F
	v_mfma_f32_16x16x16_f16 v[48:51], a[158:159], a[14:15], v[48:51]// 0000000094A8: D3CD0030 1CC21D9E
	ds_write_b64 v20, v[130:131] offset:24832                  // 0000000094B0: D89A6100 00008214
	v_mfma_f32_16x16x16_f16 v[52:55], a[144:145], a[16:17], 0  // 0000000094B8: D3CD0034 1A022190
	buffer_atomic_add_f32 v140, v7, s[32:35], 0 offen offset:256// 0000000094C0: E1341100 80088C07
	v_mfma_f32_16x16x16_f16 v[52:55], a[146:147], a[18:19], v[52:55]// 0000000094C8: D3CD0034 1CD22592
	ds_write_b64 v20, v[132:133] offset:25344                  // 0000000094D0: D89A6300 00008414
	v_mfma_f32_16x16x16_f16 v[52:55], a[148:149], a[20:21], v[52:55]// 0000000094D8: D3CD0034 1CD22994
	v_mfma_f32_16x16x16_f16 v[52:55], a[150:151], a[22:23], v[52:55]// 0000000094E0: D3CD0034 1CD22D96
	ds_write_b64 v20, v[134:135] offset:25856                  // 0000000094E8: D89A6500 00008614
	v_mfma_f32_16x16x16_f16 v[52:55], a[152:153], a[24:25], v[52:55]// 0000000094F0: D3CD0034 1CD23198
	buffer_atomic_add_f32 v141, v8, s[32:35], 0 offen offset:256// 0000000094F8: E1341100 80088D08
	v_mfma_f32_16x16x16_f16 v[52:55], a[154:155], a[26:27], v[52:55]// 000000009500: D3CD0034 1CD2359A
	ds_read_b128 v[108:111], v12 offset:13056                  // 000000009508: D9FE3300 6C00000C
	ds_write_b32 v11, v32                                      // 000000009510: D81A0000 0000200B
	v_mfma_f32_16x16x16_f16 v[52:55], a[156:157], a[28:29], v[52:55]// 000000009518: D3CD0034 1CD2399C
	v_mfma_f32_16x16x16_f16 v[52:55], a[158:159], a[30:31], v[52:55]// 000000009520: D3CD0034 1CD23D9E
	v_mfma_f32_16x16x16_f16 v[56:59], a[144:145], a[32:33], 0  // 000000009528: D3CD0038 1A024190
	ds_read_b128 v[112:115], v12 offset:13568                  // 000000009530: D9FE3500 7000000C
	ds_write_b32 v11, v33 offset:1056                          // 000000009538: D81A0420 0000210B
	v_mfma_f32_16x16x16_f16 v[56:59], a[146:147], a[34:35], v[56:59]// 000000009540: D3CD0038 1CE24592
	buffer_atomic_add_f32 v142, v7, s[32:35], 0 offen offset:384// 000000009548: E1341180 80088E07
	v_mfma_f32_16x16x16_f16 v[56:59], a[148:149], a[36:37], v[56:59]// 000000009550: D3CD0038 1CE24994
	v_mfma_f32_16x16x16_f16 v[56:59], a[150:151], a[38:39], v[56:59]// 000000009558: D3CD0038 1CE24D96
	ds_read_b128 v[116:119], v12 offset:15232                  // 000000009560: D9FE3B80 7400000C
	ds_write_b32 v11, v34 offset:128                           // 000000009568: D81A0080 0000220B
	v_mfma_f32_16x16x16_f16 v[56:59], a[152:153], a[40:41], v[56:59]// 000000009570: D3CD0038 1CE25198
	v_mfma_f32_16x16x16_f16 v[56:59], a[154:155], a[42:43], v[56:59]// 000000009578: D3CD0038 1CE2559A
	buffer_atomic_add_f32 v143, v8, s[32:35], 0 offen offset:384// 000000009580: E1341180 80088F08
	v_mfma_f32_16x16x16_f16 v[56:59], a[156:157], a[44:45], v[56:59]// 000000009588: D3CD0038 1CE2599C
	ds_read_b128 v[120:123], v12 offset:15744                  // 000000009590: D9FE3D80 7800000C
	ds_write_b32 v11, v35 offset:1184                          // 000000009598: D81A04A0 0000230B
	v_mfma_f32_16x16x16_f16 v[56:59], a[158:159], a[46:47], v[56:59]// 0000000095A0: D3CD0038 1CE25D9E
	s_add_i32 s82, s59, s97                                    // 0000000095A8: 8152613B
	s_sub_i32 s82, s82, 1                                      // 0000000095AC: 81D28152
	s_add_i32 s81, s59, 16                                     // 0000000095B0: 8151903B
	s_sub_i32 s81, s81, s98                                    // 0000000095B4: 81D16251
	s_add_i32 s81, s81, 1                                      // 0000000095B8: 81518151
	s_branch label_1602                                        // 0000000095BC: BF820000

00000000000095c0 <label_1602>:
	s_add_i32 s62, 0, s46                                      // 0000000095C0: 813E2E80
	s_mul_i32 s62, s62, 16                                     // 0000000095C4: 923E903E
	s_add_i32 s62, s80, s62                                    // 0000000095C8: 813E3E50
	s_add_i32 s61, s62, 16                                     // 0000000095CC: 813D903E
	s_add_i32 s61, s61, 16                                     // 0000000095D0: 813D903D
	s_cmp_lt_i32 s61, s81                                      // 0000000095D4: BF04513D
	s_cselect_b32 s60, 1, 0                                    // 0000000095D8: 853C8081
	s_sub_i32 s62, s62, 16                                     // 0000000095DC: 81BE903E
	s_cmp_gt_i32 s62, s82                                      // 0000000095E0: BF02523E
	s_cselect_b32 s61, 1, 0                                    // 0000000095E4: 853D8081
	s_or_b32 s60, s60, s61                                     // 0000000095E8: 873C3D3C
	s_cmp_eq_i32 s60, 1                                        // 0000000095EC: BF00813C
	s_cbranch_scc1 label_1695                                  // 0000000095F0: BF850085
	s_add_i32 s61, s62, 32                                     // 0000000095F4: 813DA03E
	s_add_i32 s62, s62, 16                                     // 0000000095F8: 813E903E
	s_cmp_lt_i32 s62, s81                                      // 0000000095FC: BF04513E
	s_cselect_b32 s60, 1, 0                                    // 000000009600: 853C8081
	s_cmp_gt_i32 s61, s82                                      // 000000009604: BF02523D
	s_cselect_b32 s61, 1, 0                                    // 000000009608: 853D8081
	s_or_b32 s60, s60, s61                                     // 00000000960C: 873C3D3C
	s_cmp_eq_i32 s60, 1                                        // 000000009610: BF00813C
	s_cbranch_scc1 label_1648                                  // 000000009614: BF85002F
	s_branch label_1619                                        // 000000009618: BF820000

000000000000961c <label_1619>:
	s_add_i32 s62, 4, s46                                      // 00000000961C: 813E2E84
	s_mul_i32 s62, s62, 16                                     // 000000009620: 923E903E
	s_add_i32 s62, s80, s62                                    // 000000009624: 813E3E50
	s_add_i32 s61, s62, 16                                     // 000000009628: 813D903E
	s_add_i32 s61, s61, 16                                     // 00000000962C: 813D903D
	s_cmp_lt_i32 s61, s81                                      // 000000009630: BF04513D
	s_cselect_b32 s60, 1, 0                                    // 000000009634: 853C8081
	s_sub_i32 s62, s62, 16                                     // 000000009638: 81BE903E
	s_cmp_gt_i32 s62, s82                                      // 00000000963C: BF02523E
	s_cselect_b32 s61, 1, 0                                    // 000000009640: 853D8081
	s_or_b32 s60, s60, s61                                     // 000000009644: 873C3D3C
	s_cmp_eq_i32 s60, 1                                        // 000000009648: BF00813C
	s_cbranch_scc1 label_16E7                                  // 00000000964C: BF8500C0
	s_add_i32 s61, s62, 32                                     // 000000009650: 813DA03E
	s_add_i32 s62, s62, 16                                     // 000000009654: 813E903E
	s_cmp_lt_i32 s62, s81                                      // 000000009658: BF04513E
	s_cselect_b32 s60, 1, 0                                    // 00000000965C: 853C8081
	s_cmp_gt_i32 s61, s82                                      // 000000009660: BF02523D
	s_cselect_b32 s61, 1, 0                                    // 000000009664: 853D8081
	s_or_b32 s60, s60, s61                                     // 000000009668: 873C3D3C
	s_cmp_eq_i32 s60, 1                                        // 00000000966C: BF00813C
	s_cbranch_scc1 label_169A                                  // 000000009670: BF85006A
	s_branch label_1630                                        // 000000009674: BF820000

0000000000009678 <label_1630>:
	s_add_i32 s62, 8, s46                                      // 000000009678: 813E2E88
	s_mul_i32 s62, s62, 16                                     // 00000000967C: 923E903E
	s_add_i32 s62, s80, s62                                    // 000000009680: 813E3E50
	s_add_i32 s61, s62, 16                                     // 000000009684: 813D903E
	s_add_i32 s61, s61, 16                                     // 000000009688: 813D903D
	s_cmp_lt_i32 s61, s81                                      // 00000000968C: BF04513D
	s_cselect_b32 s60, 1, 0                                    // 000000009690: 853C8081
	s_sub_i32 s62, s62, 16                                     // 000000009694: 81BE903E
	s_cmp_gt_i32 s62, s82                                      // 000000009698: BF02523E
	s_cselect_b32 s61, 1, 0                                    // 00000000969C: 853D8081
	s_or_b32 s60, s60, s61                                     // 0000000096A0: 873C3D3C
	s_cmp_eq_i32 s60, 1                                        // 0000000096A4: BF00813C
	s_cbranch_scc1 label_1739                                  // 0000000096A8: BF8500FB
	s_add_i32 s61, s62, 32                                     // 0000000096AC: 813DA03E
	s_add_i32 s62, s62, 16                                     // 0000000096B0: 813E903E
	s_cmp_lt_i32 s62, s81                                      // 0000000096B4: BF04513E
	s_cselect_b32 s60, 1, 0                                    // 0000000096B8: 853C8081
	s_cmp_gt_i32 s61, s82                                      // 0000000096BC: BF02523D
	s_cselect_b32 s61, 1, 0                                    // 0000000096C0: 853D8081
	s_or_b32 s60, s60, s61                                     // 0000000096C4: 873C3D3C
	s_cmp_eq_i32 s60, 1                                        // 0000000096C8: BF00813C
	s_cbranch_scc1 label_16EC                                  // 0000000096CC: BF8500A5
	s_branch label_173E                                        // 0000000096D0: BF8200F6

00000000000096d4 <label_1648>:
	v_and_b32_e32 v28, 15, v0                                  // 0000000096D4: 2638008F
	v_add_u32_e32 v28, s62, v28                                // 0000000096D8: 6838383E
	v_lshrrev_b32_e32 v29, 4, v0                               // 0000000096DC: 203A0084
	v_lshlrev_b32_e32 v29, 2, v29                              // 0000000096E0: 243A3A82
	v_add_i32 v29, 0, v29                                      // 0000000096E4: D29C001D 00023A80
	v_add_i32 v29, s59, v29                                    // 0000000096EC: D29C001D 00023A3B
	v_sub_i32 v29, v29, v28                                    // 0000000096F4: D29D001D 0002391D
	v_cmp_ge_i32_e64 vcc, v29, s98                             // 0000000096FC: D0C6006A 0000C51D
	v_sub_i32 v29, 0, v29                                      // 000000009704: D29D001D 00023A80
	v_cndmask_b32_e32 v48, v48, v151, vcc                      // 00000000970C: 00612F30
	v_cmp_ge_i32_e64 vcc, v29, s97                             // 000000009710: D0C6006A 0000C31D
	s_nop 1                                                    // 000000009718: BF800001
	v_cndmask_b32_e32 v48, v48, v151, vcc                      // 00000000971C: 00612F30
	v_and_b32_e32 v28, 15, v0                                  // 000000009720: 2638008F
	v_add_u32_e32 v28, s62, v28                                // 000000009724: 6838383E
	v_lshrrev_b32_e32 v29, 4, v0                               // 000000009728: 203A0084
	v_lshlrev_b32_e32 v29, 2, v29                              // 00000000972C: 243A3A82
	v_add_i32 v29, 1, v29                                      // 000000009730: D29C001D 00023A81
	v_add_i32 v29, s59, v29                                    // 000000009738: D29C001D 00023A3B
	v_sub_i32 v29, v29, v28                                    // 000000009740: D29D001D 0002391D
	v_cmp_ge_i32_e64 vcc, v29, s98                             // 000000009748: D0C6006A 0000C51D
	v_sub_i32 v29, 0, v29                                      // 000000009750: D29D001D 00023A80
	v_cndmask_b32_e32 v49, v49, v151, vcc                      // 000000009758: 00632F31
	v_cmp_ge_i32_e64 vcc, v29, s97                             // 00000000975C: D0C6006A 0000C31D
	s_nop 1                                                    // 000000009764: BF800001
	v_cndmask_b32_e32 v49, v49, v151, vcc                      // 000000009768: 00632F31
	v_and_b32_e32 v28, 15, v0                                  // 00000000976C: 2638008F
	v_add_u32_e32 v28, s62, v28                                // 000000009770: 6838383E
	v_lshrrev_b32_e32 v29, 4, v0                               // 000000009774: 203A0084
	v_lshlrev_b32_e32 v29, 2, v29                              // 000000009778: 243A3A82
	v_add_i32 v29, 2, v29                                      // 00000000977C: D29C001D 00023A82
	v_add_i32 v29, s59, v29                                    // 000000009784: D29C001D 00023A3B
	v_sub_i32 v29, v29, v28                                    // 00000000978C: D29D001D 0002391D
	v_cmp_ge_i32_e64 vcc, v29, s98                             // 000000009794: D0C6006A 0000C51D
	v_sub_i32 v29, 0, v29                                      // 00000000979C: D29D001D 00023A80
	v_cndmask_b32_e32 v50, v50, v151, vcc                      // 0000000097A4: 00652F32
	v_cmp_ge_i32_e64 vcc, v29, s97                             // 0000000097A8: D0C6006A 0000C31D
	s_nop 1                                                    // 0000000097B0: BF800001
	v_cndmask_b32_e32 v50, v50, v151, vcc                      // 0000000097B4: 00652F32
	v_and_b32_e32 v28, 15, v0                                  // 0000000097B8: 2638008F
	v_add_u32_e32 v28, s62, v28                                // 0000000097BC: 6838383E
	v_lshrrev_b32_e32 v29, 4, v0                               // 0000000097C0: 203A0084
	v_lshlrev_b32_e32 v29, 2, v29                              // 0000000097C4: 243A3A82
	v_add_i32 v29, 3, v29                                      // 0000000097C8: D29C001D 00023A83
	v_add_i32 v29, s59, v29                                    // 0000000097D0: D29C001D 00023A3B
	v_sub_i32 v29, v29, v28                                    // 0000000097D8: D29D001D 0002391D
	v_cmp_ge_i32_e64 vcc, v29, s98                             // 0000000097E0: D0C6006A 0000C51D
	v_sub_i32 v29, 0, v29                                      // 0000000097E8: D29D001D 00023A80
	v_cndmask_b32_e32 v51, v51, v151, vcc                      // 0000000097F0: 00672F33
	v_cmp_ge_i32_e64 vcc, v29, s97                             // 0000000097F4: D0C6006A 0000C31D
	s_nop 1                                                    // 0000000097FC: BF800001
	v_cndmask_b32_e32 v51, v51, v151, vcc                      // 000000009800: 00672F33
	s_branch label_1619                                        // 000000009804: BF82FF85

0000000000009808 <label_1695>:
	v_mov_b32_e32 v48, v151                                    // 000000009808: 7E600397
	v_mov_b32_e32 v49, v151                                    // 00000000980C: 7E620397
	v_mov_b32_e32 v50, v151                                    // 000000009810: 7E640397
	v_mov_b32_e32 v51, v151                                    // 000000009814: 7E660397
	s_branch label_1619                                        // 000000009818: BF82FF80

000000000000981c <label_169A>:
	v_and_b32_e32 v28, 15, v0                                  // 00000000981C: 2638008F
	v_add_u32_e32 v28, s62, v28                                // 000000009820: 6838383E
	v_lshrrev_b32_e32 v29, 4, v0                               // 000000009824: 203A0084
	v_lshlrev_b32_e32 v29, 2, v29                              // 000000009828: 243A3A82
	v_add_i32 v29, 0, v29                                      // 00000000982C: D29C001D 00023A80
	v_add_i32 v29, s59, v29                                    // 000000009834: D29C001D 00023A3B
	v_sub_i32 v29, v29, v28                                    // 00000000983C: D29D001D 0002391D
	v_cmp_ge_i32_e64 vcc, v29, s98                             // 000000009844: D0C6006A 0000C51D
	v_sub_i32 v29, 0, v29                                      // 00000000984C: D29D001D 00023A80
	v_cndmask_b32_e32 v52, v52, v151, vcc                      // 000000009854: 00692F34
	v_cmp_ge_i32_e64 vcc, v29, s97                             // 000000009858: D0C6006A 0000C31D
	s_nop 1                                                    // 000000009860: BF800001
	v_cndmask_b32_e32 v52, v52, v151, vcc                      // 000000009864: 00692F34
	v_and_b32_e32 v28, 15, v0                                  // 000000009868: 2638008F
	v_add_u32_e32 v28, s62, v28                                // 00000000986C: 6838383E
	v_lshrrev_b32_e32 v29, 4, v0                               // 000000009870: 203A0084
	v_lshlrev_b32_e32 v29, 2, v29                              // 000000009874: 243A3A82
	v_add_i32 v29, 1, v29                                      // 000000009878: D29C001D 00023A81
	v_add_i32 v29, s59, v29                                    // 000000009880: D29C001D 00023A3B
	v_sub_i32 v29, v29, v28                                    // 000000009888: D29D001D 0002391D
	v_cmp_ge_i32_e64 vcc, v29, s98                             // 000000009890: D0C6006A 0000C51D
	v_sub_i32 v29, 0, v29                                      // 000000009898: D29D001D 00023A80
	v_cndmask_b32_e32 v53, v53, v151, vcc                      // 0000000098A0: 006B2F35
	v_cmp_ge_i32_e64 vcc, v29, s97                             // 0000000098A4: D0C6006A 0000C31D
	s_nop 1                                                    // 0000000098AC: BF800001
	v_cndmask_b32_e32 v53, v53, v151, vcc                      // 0000000098B0: 006B2F35
	v_and_b32_e32 v28, 15, v0                                  // 0000000098B4: 2638008F
	v_add_u32_e32 v28, s62, v28                                // 0000000098B8: 6838383E
	v_lshrrev_b32_e32 v29, 4, v0                               // 0000000098BC: 203A0084
	v_lshlrev_b32_e32 v29, 2, v29                              // 0000000098C0: 243A3A82
	v_add_i32 v29, 2, v29                                      // 0000000098C4: D29C001D 00023A82
	v_add_i32 v29, s59, v29                                    // 0000000098CC: D29C001D 00023A3B
	v_sub_i32 v29, v29, v28                                    // 0000000098D4: D29D001D 0002391D
	v_cmp_ge_i32_e64 vcc, v29, s98                             // 0000000098DC: D0C6006A 0000C51D
	v_sub_i32 v29, 0, v29                                      // 0000000098E4: D29D001D 00023A80
	v_cndmask_b32_e32 v54, v54, v151, vcc                      // 0000000098EC: 006D2F36
	v_cmp_ge_i32_e64 vcc, v29, s97                             // 0000000098F0: D0C6006A 0000C31D
	s_nop 1                                                    // 0000000098F8: BF800001
	v_cndmask_b32_e32 v54, v54, v151, vcc                      // 0000000098FC: 006D2F36
	v_and_b32_e32 v28, 15, v0                                  // 000000009900: 2638008F
	v_add_u32_e32 v28, s62, v28                                // 000000009904: 6838383E
	v_lshrrev_b32_e32 v29, 4, v0                               // 000000009908: 203A0084
	v_lshlrev_b32_e32 v29, 2, v29                              // 00000000990C: 243A3A82
	v_add_i32 v29, 3, v29                                      // 000000009910: D29C001D 00023A83
	v_add_i32 v29, s59, v29                                    // 000000009918: D29C001D 00023A3B
	v_sub_i32 v29, v29, v28                                    // 000000009920: D29D001D 0002391D
	v_cmp_ge_i32_e64 vcc, v29, s98                             // 000000009928: D0C6006A 0000C51D
	v_sub_i32 v29, 0, v29                                      // 000000009930: D29D001D 00023A80
	v_cndmask_b32_e32 v55, v55, v151, vcc                      // 000000009938: 006F2F37
	v_cmp_ge_i32_e64 vcc, v29, s97                             // 00000000993C: D0C6006A 0000C31D
	s_nop 1                                                    // 000000009944: BF800001
	v_cndmask_b32_e32 v55, v55, v151, vcc                      // 000000009948: 006F2F37
	s_branch label_1630                                        // 00000000994C: BF82FF4A

0000000000009950 <label_16E7>:
	v_mov_b32_e32 v52, v151                                    // 000000009950: 7E680397
	v_mov_b32_e32 v53, v151                                    // 000000009954: 7E6A0397
	v_mov_b32_e32 v54, v151                                    // 000000009958: 7E6C0397
	v_mov_b32_e32 v55, v151                                    // 00000000995C: 7E6E0397
	s_branch label_1630                                        // 000000009960: BF82FF45

0000000000009964 <label_16EC>:
	v_and_b32_e32 v28, 15, v0                                  // 000000009964: 2638008F
	v_add_u32_e32 v28, s62, v28                                // 000000009968: 6838383E
	v_lshrrev_b32_e32 v29, 4, v0                               // 00000000996C: 203A0084
	v_lshlrev_b32_e32 v29, 2, v29                              // 000000009970: 243A3A82
	v_add_i32 v29, 0, v29                                      // 000000009974: D29C001D 00023A80
	v_add_i32 v29, s59, v29                                    // 00000000997C: D29C001D 00023A3B
	v_sub_i32 v29, v29, v28                                    // 000000009984: D29D001D 0002391D
	v_cmp_ge_i32_e64 vcc, v29, s98                             // 00000000998C: D0C6006A 0000C51D
	v_sub_i32 v29, 0, v29                                      // 000000009994: D29D001D 00023A80
	v_cndmask_b32_e32 v56, v56, v151, vcc                      // 00000000999C: 00712F38
	v_cmp_ge_i32_e64 vcc, v29, s97                             // 0000000099A0: D0C6006A 0000C31D
	s_nop 1                                                    // 0000000099A8: BF800001
	v_cndmask_b32_e32 v56, v56, v151, vcc                      // 0000000099AC: 00712F38
	v_and_b32_e32 v28, 15, v0                                  // 0000000099B0: 2638008F
	v_add_u32_e32 v28, s62, v28                                // 0000000099B4: 6838383E
	v_lshrrev_b32_e32 v29, 4, v0                               // 0000000099B8: 203A0084
	v_lshlrev_b32_e32 v29, 2, v29                              // 0000000099BC: 243A3A82
	v_add_i32 v29, 1, v29                                      // 0000000099C0: D29C001D 00023A81
	v_add_i32 v29, s59, v29                                    // 0000000099C8: D29C001D 00023A3B
	v_sub_i32 v29, v29, v28                                    // 0000000099D0: D29D001D 0002391D
	v_cmp_ge_i32_e64 vcc, v29, s98                             // 0000000099D8: D0C6006A 0000C51D
	v_sub_i32 v29, 0, v29                                      // 0000000099E0: D29D001D 00023A80
	v_cndmask_b32_e32 v57, v57, v151, vcc                      // 0000000099E8: 00732F39
	v_cmp_ge_i32_e64 vcc, v29, s97                             // 0000000099EC: D0C6006A 0000C31D
	s_nop 1                                                    // 0000000099F4: BF800001
	v_cndmask_b32_e32 v57, v57, v151, vcc                      // 0000000099F8: 00732F39
	v_and_b32_e32 v28, 15, v0                                  // 0000000099FC: 2638008F
	v_add_u32_e32 v28, s62, v28                                // 000000009A00: 6838383E
	v_lshrrev_b32_e32 v29, 4, v0                               // 000000009A04: 203A0084
	v_lshlrev_b32_e32 v29, 2, v29                              // 000000009A08: 243A3A82
	v_add_i32 v29, 2, v29                                      // 000000009A0C: D29C001D 00023A82
	v_add_i32 v29, s59, v29                                    // 000000009A14: D29C001D 00023A3B
	v_sub_i32 v29, v29, v28                                    // 000000009A1C: D29D001D 0002391D
	v_cmp_ge_i32_e64 vcc, v29, s98                             // 000000009A24: D0C6006A 0000C51D
	v_sub_i32 v29, 0, v29                                      // 000000009A2C: D29D001D 00023A80
	v_cndmask_b32_e32 v58, v58, v151, vcc                      // 000000009A34: 00752F3A
	v_cmp_ge_i32_e64 vcc, v29, s97                             // 000000009A38: D0C6006A 0000C31D
	s_nop 1                                                    // 000000009A40: BF800001
	v_cndmask_b32_e32 v58, v58, v151, vcc                      // 000000009A44: 00752F3A
	v_and_b32_e32 v28, 15, v0                                  // 000000009A48: 2638008F
	v_add_u32_e32 v28, s62, v28                                // 000000009A4C: 6838383E
	v_lshrrev_b32_e32 v29, 4, v0                               // 000000009A50: 203A0084
	v_lshlrev_b32_e32 v29, 2, v29                              // 000000009A54: 243A3A82
	v_add_i32 v29, 3, v29                                      // 000000009A58: D29C001D 00023A83
	v_add_i32 v29, s59, v29                                    // 000000009A60: D29C001D 00023A3B
	v_sub_i32 v29, v29, v28                                    // 000000009A68: D29D001D 0002391D
	v_cmp_ge_i32_e64 vcc, v29, s98                             // 000000009A70: D0C6006A 0000C51D
	v_sub_i32 v29, 0, v29                                      // 000000009A78: D29D001D 00023A80
	v_cndmask_b32_e32 v59, v59, v151, vcc                      // 000000009A80: 00772F3B
	v_cmp_ge_i32_e64 vcc, v29, s97                             // 000000009A84: D0C6006A 0000C31D
	s_nop 1                                                    // 000000009A8C: BF800001
	v_cndmask_b32_e32 v59, v59, v151, vcc                      // 000000009A90: 00772F3B
	s_branch label_173E                                        // 000000009A94: BF820005

0000000000009a98 <label_1739>:
	v_mov_b32_e32 v56, v151                                    // 000000009A98: 7E700397
	v_mov_b32_e32 v57, v151                                    // 000000009A9C: 7E720397
	v_mov_b32_e32 v58, v151                                    // 000000009AA0: 7E740397
	v_mov_b32_e32 v59, v151                                    // 000000009AA4: 7E760397
	s_branch label_173E                                        // 000000009AA8: BF820000

0000000000009aac <label_173E>:
	s_cmp_lt_i32 s100, 0xc0                                    // 000000009AAC: BF04FF64 000000C0
	s_cbranch_scc0 label_1793                                  // 000000009AB4: BF84004D
	s_cmp_le_i32 s100, 64                                      // 000000009AB8: BF05C064
	s_cbranch_scc1 label_174A                                  // 000000009ABC: BF850007
	s_cmp_le_i32 s100, 0x80                                    // 000000009AC0: BF05FF64 00000080
	s_cbranch_scc1 label_1762                                  // 000000009AC8: BF850017
	s_cmp_lt_i32 s100, 0xc0                                    // 000000009ACC: BF04FF64 000000C0
	s_cbranch_scc1 label_177A                                  // 000000009AD4: BF85002C
	s_branch label_1793                                        // 000000009AD8: BF820044

0000000000009adc <label_174A>:
	s_mov_b32 s60, 0                                           // 000000009ADC: BEBC0080
	v_and_b32_e32 v28, 15, v0                                  // 000000009AE0: 2638008F
	v_add_u32_e64 v28, v28, s60                                // 000000009AE4: D134001C 0000791C
	v_mul_i32_i24_e64 v29, s46, 16                             // 000000009AEC: D106001D 0001202E
	v_add_u32_e32 v28, v28, v29                                // 000000009AF4: 68383B1C
	v_cmp_lt_u32_e64 s[60:61], v28, s100                       // 000000009AF8: D0C9003C 0000C91C
	s_nop 1                                                    // 000000009B00: BF800001
	v_cndmask_b32_e64 v48, v151, v48, s[60:61]                 // 000000009B04: D1000030 00F26197
	v_cndmask_b32_e64 v49, v151, v49, s[60:61]                 // 000000009B0C: D1000031 00F26397
	v_cndmask_b32_e64 v50, v151, v50, s[60:61]                 // 000000009B14: D1000032 00F26597
	v_cndmask_b32_e64 v51, v151, v51, s[60:61]                 // 000000009B1C: D1000033 00F26797
	s_branch label_1775                                        // 000000009B24: BF820013

0000000000009b28 <label_1762>:
	s_mov_b32 s60, 64                                          // 000000009B28: BEBC00C0
	v_and_b32_e32 v28, 15, v0                                  // 000000009B2C: 2638008F
	v_add_u32_e64 v28, v28, s60                                // 000000009B30: D134001C 0000791C
	v_mul_i32_i24_e64 v29, s46, 16                             // 000000009B38: D106001D 0001202E
	v_add_u32_e32 v28, v28, v29                                // 000000009B40: 68383B1C
	v_cmp_lt_u32_e64 s[60:61], v28, s100                       // 000000009B44: D0C9003C 0000C91C
	s_nop 1                                                    // 000000009B4C: BF800001
	v_cndmask_b32_e64 v52, v151, v52, s[60:61]                 // 000000009B50: D1000034 00F26997
	v_cndmask_b32_e64 v53, v151, v53, s[60:61]                 // 000000009B58: D1000035 00F26B97
	v_cndmask_b32_e64 v54, v151, v54, s[60:61]                 // 000000009B60: D1000036 00F26D97
	v_cndmask_b32_e64 v55, v151, v55, s[60:61]                 // 000000009B68: D1000037 00F26F97
	s_branch label_178E                                        // 000000009B70: BF820019

0000000000009b74 <label_1775>:
	v_mov_b32_e32 v52, v151                                    // 000000009B74: 7E680397
	v_mov_b32_e32 v53, v151                                    // 000000009B78: 7E6A0397
	v_mov_b32_e32 v54, v151                                    // 000000009B7C: 7E6C0397
	v_mov_b32_e32 v55, v151                                    // 000000009B80: 7E6E0397
	s_branch label_178E                                        // 000000009B84: BF820014

0000000000009b88 <label_177A>:
	s_mov_b32 s60, 0x80                                        // 000000009B88: BEBC00FF 00000080
	v_and_b32_e32 v28, 15, v0                                  // 000000009B90: 2638008F
	v_add_u32_e64 v28, v28, s60                                // 000000009B94: D134001C 0000791C
	v_mul_i32_i24_e64 v29, s46, 16                             // 000000009B9C: D106001D 0001202E
	v_add_u32_e32 v28, v28, v29                                // 000000009BA4: 68383B1C
	v_cmp_lt_u32_e64 s[60:61], v28, s100                       // 000000009BA8: D0C9003C 0000C91C
	s_nop 1                                                    // 000000009BB0: BF800001
	v_cndmask_b32_e64 v56, v151, v56, s[60:61]                 // 000000009BB4: D1000038 00F27197
	v_cndmask_b32_e64 v57, v151, v57, s[60:61]                 // 000000009BBC: D1000039 00F27397
	v_cndmask_b32_e64 v58, v151, v58, s[60:61]                 // 000000009BC4: D100003A 00F27597
	v_cndmask_b32_e64 v59, v151, v59, s[60:61]                 // 000000009BCC: D100003B 00F27797
	s_branch label_1793                                        // 000000009BD4: BF820005

0000000000009bd8 <label_178E>:
	v_mov_b32_e32 v56, v151                                    // 000000009BD8: 7E700397
	v_mov_b32_e32 v57, v151                                    // 000000009BDC: 7E720397
	v_mov_b32_e32 v58, v151                                    // 000000009BE0: 7E740397
	v_mov_b32_e32 v59, v151                                    // 000000009BE4: 7E760397
	s_branch label_1793                                        // 000000009BE8: BF820000

0000000000009bec <label_1793>:
	s_waitcnt lgkmcnt(8)                                       // 000000009BEC: BF8CC87F
	s_barrier                                                  // 000000009BF0: BF8A0000
	v_mfma_f32_16x16x16_f16 v[72:75], v[92:93], a[96:97], 0    // 000000009BF4: D3CD0048 1202C15C
	v_fma_f32 v48, v48, s57, -v124                             // 000000009BFC: D1CB0030 85F07330
	v_fma_f32 v49, v49, s57, -v125                             // 000000009C04: D1CB0031 85F47331
	v_fma_f32 v50, v50, s57, -v126                             // 000000009C0C: D1CB0032 85F87332
	v_mfma_f32_16x16x16_f16 v[72:75], v[94:95], a[98:99], v[72:75]// 000000009C14: D3CD0048 1522C55E
	ds_read_b128 a[144:147], v12 offset:4352                   // 000000009C1C: DBFE1100 9000000C
	ds_read_b128 a[148:151], v12 offset:4864                   // 000000009C24: DBFE1300 9400000C
	v_mfma_f32_16x16x16_f16 v[72:75], v[96:97], a[100:101], v[72:75]// 000000009C2C: D3CD0048 1522C960
	v_fma_f32 v51, v51, s57, -v127                             // 000000009C34: D1CB0033 85FC7333
	v_fma_f32 v52, v52, s57, -v124                             // 000000009C3C: D1CB0034 85F07334
	v_fma_f32 v53, v53, s57, -v125                             // 000000009C44: D1CB0035 85F47335
	v_mfma_f32_16x16x16_f16 v[72:75], v[98:99], a[102:103], v[72:75]// 000000009C4C: D3CD0048 1522CD62
	v_fma_f32 v54, v54, s57, -v126                             // 000000009C54: D1CB0036 85F87336
	v_fma_f32 v55, v55, s57, -v127                             // 000000009C5C: D1CB0037 85FC7337
	v_fma_f32 v56, v56, s57, -v124                             // 000000009C64: D1CB0038 85F07338
	v_mfma_f32_16x16x16_f16 v[72:75], v[100:101], a[104:105], v[72:75]// 000000009C6C: D3CD0048 1522D164
	v_fma_f32 v57, v57, s57, -v125                             // 000000009C74: D1CB0039 85F47339
	v_fma_f32 v58, v58, s57, -v126                             // 000000009C7C: D1CB003A 85F8733A
	v_fma_f32 v59, v59, s57, -v127                             // 000000009C84: D1CB003B 85FC733B
	v_mfma_f32_16x16x16_f16 v[72:75], v[102:103], a[106:107], v[72:75]// 000000009C8C: D3CD0048 1522D566
	ds_read_b128 a[152:155], v12 offset:6528                   // 000000009C94: DBFE1980 9800000C
	ds_read_b128 a[156:159], v12 offset:7040                   // 000000009C9C: DBFE1B80 9C00000C
	v_mfma_f32_16x16x16_f16 v[72:75], v[104:105], a[108:109], v[72:75]// 000000009CA4: D3CD0048 1522D968
	v_exp_f32_e32 v48, v48                                     // 000000009CAC: 7E604130
	v_mfma_f32_16x16x16_f16 v[72:75], v[106:107], a[110:111], v[72:75]// 000000009CB0: D3CD0048 1522DD6A
	v_exp_f32_e32 v49, v49                                     // 000000009CB8: 7E624131
	v_mfma_f32_16x16x16_f16 v[76:79], v[92:93], a[112:113], 0  // 000000009CBC: D3CD004C 1202E15C
	v_exp_f32_e32 v50, v50                                     // 000000009CC4: 7E644132
	v_mfma_f32_16x16x16_f16 v[76:79], v[94:95], a[114:115], v[76:79]// 000000009CC8: D3CD004C 1532E55E
	ds_read_b64 v[136:137], v19 offset:24320                   // 000000009CD0: D8EC5F00 88000013
	ds_read_b64 v[138:139], v19 offset:26368                   // 000000009CD8: D8EC6700 8A000013
	v_mfma_f32_16x16x16_f16 v[76:79], v[96:97], a[116:117], v[76:79]// 000000009CE0: D3CD004C 1532E960
	v_exp_f32_e32 v51, v51                                     // 000000009CE8: 7E664133
	v_mfma_f32_16x16x16_f16 v[76:79], v[98:99], a[118:119], v[76:79]// 000000009CEC: D3CD004C 1532ED62
	ds_read_b64 v[140:141], v19 offset:28416                   // 000000009CF4: D8EC6F00 8C000013
	ds_read_b64 v[142:143], v19 offset:30464                   // 000000009CFC: D8EC7700 8E000013
	v_mfma_f32_16x16x16_f16 v[76:79], v[100:101], a[120:121], v[76:79]// 000000009D04: D3CD004C 1532F164
	v_exp_f32_e32 v52, v52                                     // 000000009D0C: 7E684134
	v_mfma_f32_16x16x16_f16 v[76:79], v[102:103], a[122:123], v[76:79]// 000000009D10: D3CD004C 1532F566
	v_exp_f32_e32 v53, v53                                     // 000000009D18: 7E6A4135
	v_mfma_f32_16x16x16_f16 v[76:79], v[104:105], a[124:125], v[76:79]// 000000009D1C: D3CD004C 1532F968
	v_exp_f32_e32 v54, v54                                     // 000000009D24: 7E6C4136
	v_mfma_f32_16x16x16_f16 v[76:79], v[106:107], a[126:127], v[76:79]// 000000009D28: D3CD004C 1532FD6A
	v_exp_f32_e32 v55, v55                                     // 000000009D30: 7E6E4137
	v_mfma_f32_16x16x16_f16 v[80:83], v[92:93], a[128:129], 0  // 000000009D34: D3CD0050 1203015C
	v_exp_f32_e32 v56, v56                                     // 000000009D3C: 7E704138
	v_mfma_f32_16x16x16_f16 v[80:83], v[94:95], a[130:131], v[80:83]// 000000009D40: D3CD0050 1543055E
	v_exp_f32_e32 v57, v57                                     // 000000009D48: 7E724139
	v_mfma_f32_16x16x16_f16 v[80:83], v[96:97], a[132:133], v[80:83]// 000000009D4C: D3CD0050 15430960
	v_exp_f32_e32 v58, v58                                     // 000000009D54: 7E74413A
	v_mfma_f32_16x16x16_f16 v[80:83], v[98:99], a[134:135], v[80:83]// 000000009D58: D3CD0050 15430D62
	v_exp_f32_e32 v59, v59                                     // 000000009D60: 7E76413B
	v_mfma_f32_16x16x16_f16 v[80:83], v[100:101], a[136:137], v[80:83]// 000000009D64: D3CD0050 15431164
	v_cvt_pkrtz_f16_f32 v144, v48, v49                         // 000000009D6C: D2960090 00026330
	v_cvt_pkrtz_f16_f32 v145, v50, v51                         // 000000009D74: D2960091 00026732
	v_cvt_pkrtz_f16_f32 v146, v52, v53                         // 000000009D7C: D2960092 00026B34
	v_mfma_f32_16x16x16_f16 v[80:83], v[102:103], a[138:139], v[80:83]// 000000009D84: D3CD0050 15431566
	v_cvt_pkrtz_f16_f32 v147, v54, v55                         // 000000009D8C: D2960093 00026F36
	v_cvt_pkrtz_f16_f32 v148, v56, v57                         // 000000009D94: D2960094 00027338
	v_cvt_pkrtz_f16_f32 v149, v58, v59                         // 000000009D9C: D2960095 0002773A
	v_mfma_f32_16x16x16_f16 v[80:83], v[104:105], a[140:141], v[80:83]// 000000009DA4: D3CD0050 15431968
	v_add_u32_e32 v7, s66, v7                                  // 000000009DAC: 680E0E42
	v_add_u32_e32 v8, s66, v8                                  // 000000009DB0: 68101042
	v_mfma_f32_16x16x16_f16 v[80:83], v[106:107], a[142:143], v[80:83]// 000000009DB4: D3CD0050 15431D6A
	s_waitcnt lgkmcnt(0)                                       // 000000009DBC: BF8CC07F
	s_barrier                                                  // 000000009DC0: BF8A0000
	v_mfma_f32_16x16x16_f16 v[152:155], v[108:109], v[144:145], v[152:155]// 000000009DC4: D3CD0098 0663216C
	v_subrev_f32_dpp v72, v150, v72 quad_perm:[0,0,0,0] row_mask:0xf bank_mask:0xf// 000000009DCC: 069090FA FF000096
	v_subrev_f32_dpp v73, v150, v73 quad_perm:[1,1,1,1] row_mask:0xf bank_mask:0xf// 000000009DD4: 069292FA FF005596
	v_subrev_f32_dpp v74, v150, v74 quad_perm:[2,2,2,2] row_mask:0xf bank_mask:0xf// 000000009DDC: 069494FA FF00AA96
	v_mfma_f32_16x16x16_f16 v[156:159], v[110:111], v[144:145], v[156:159]// 000000009DE4: D3CD009C 0673216E
	v_subrev_f32_dpp v75, v150, v75 quad_perm:[3,3,3,3] row_mask:0xf bank_mask:0xf// 000000009DEC: 069696FA FF00FF96
	v_subrev_f32_dpp v76, v150, v76 quad_perm:[0,0,0,0] row_mask:0xf bank_mask:0xf// 000000009DF4: 069898FA FF000096
	v_subrev_f32_dpp v77, v150, v77 quad_perm:[1,1,1,1] row_mask:0xf bank_mask:0xf// 000000009DFC: 069A9AFA FF005596
	v_mfma_f32_16x16x16_f16 v[160:163], v[112:113], v[144:145], v[160:163]// 000000009E04: D3CD00A0 06832170
	v_mul_f32_e32 v72, v48, v72                                // 000000009E0C: 0A909130
	v_mul_f32_e32 v73, v49, v73                                // 000000009E10: 0A929331
	v_mul_f32_e32 v74, v50, v74                                // 000000009E14: 0A949532
	v_mfma_f32_16x16x16_f16 v[164:167], v[114:115], v[144:145], v[164:167]// 000000009E18: D3CD00A4 06932172
	v_mul_f32_e32 v75, v51, v75                                // 000000009E20: 0A969733
	v_mul_f32_e32 v76, v52, v76                                // 000000009E24: 0A989934
	v_mul_f32_e32 v77, v53, v77                                // 000000009E28: 0A9A9B35
	v_mfma_f32_16x16x16_f16 v[168:171], v[116:117], v[144:145], v[168:171]// 000000009E2C: D3CD00A8 06A32174
	v_cvt_pkrtz_f16_f32 v72, v72, v73                          // 000000009E34: D2960048 00029348
	v_cvt_pkrtz_f16_f32 v73, v74, v75                          // 000000009E3C: D2960049 0002974A
	v_cvt_pkrtz_f16_f32 v74, v76, v77                          // 000000009E44: D296004A 00029B4C
	v_mfma_f32_16x16x16_f16 v[172:175], v[118:119], v[144:145], v[172:175]// 000000009E4C: D3CD00AC 06B32176
	v_mov_b32_dpp v16, v72 quad_perm:[1,0,3,2] row_mask:0xf bank_mask:0xf// 000000009E54: 7E2002FA FF00B148
	v_perm_b32 v48, v16, v72, v15                              // 000000009E5C: D1ED0030 043E9110
	v_mov_b32_dpp v16, v73 quad_perm:[1,0,3,2] row_mask:0xf bank_mask:0xf// 000000009E64: 7E2002FA FF00B149
	v_mfma_f32_16x16x16_f16 v[176:179], v[120:121], v[144:145], v[176:179]// 000000009E6C: D3CD00B0 06C32178
	ds_write_b32 v18, v48 offset:17408                         // 000000009E74: D81A4400 00003012
	v_mfma_f32_16x16x16_f16 v[180:183], v[122:123], v[144:145], v[180:183]// 000000009E7C: D3CD00B4 06D3217A
	v_perm_b32 v49, v16, v73, v15                              // 000000009E84: D1ED0031 043E9310
	v_mov_b32_dpp v16, v74 quad_perm:[1,0,3,2] row_mask:0xf bank_mask:0xf// 000000009E8C: 7E2002FA FF00B14A
	v_perm_b32 v50, v16, v74, v15                              // 000000009E94: D1ED0032 043E9510
	v_mfma_f32_16x16x16_f16 v[184:187], v[108:109], v[146:147], v[184:187]// 000000009E9C: D3CD00B8 06E3256C
	ds_write_b32 v18, v49 offset:17952                         // 000000009EA4: D81A4620 00003112
	v_mfma_f32_16x16x16_f16 v[188:191], v[110:111], v[146:147], v[188:191]// 000000009EAC: D3CD00BC 06F3256E
	v_subrev_f32_dpp v78, v150, v78 quad_perm:[2,2,2,2] row_mask:0xf bank_mask:0xf// 000000009EB4: 069C9CFA FF00AA96
	v_subrev_f32_dpp v79, v150, v79 quad_perm:[3,3,3,3] row_mask:0xf bank_mask:0xf// 000000009EBC: 069E9EFA FF00FF96
	v_subrev_f32_dpp v80, v150, v80 quad_perm:[0,0,0,0] row_mask:0xf bank_mask:0xf// 000000009EC4: 06A0A0FA FF000096
	v_mfma_f32_16x16x16_f16 v[192:195], v[112:113], v[146:147], v[192:195]// 000000009ECC: D3CD00C0 07032570
	ds_write_b32 v18, v50 offset:19712                         // 000000009ED4: D81A4D00 00003212
	v_mfma_f32_16x16x16_f16 v[196:199], v[114:115], v[146:147], v[196:199]// 000000009EDC: D3CD00C4 07132572
	v_subrev_f32_dpp v81, v150, v81 quad_perm:[1,1,1,1] row_mask:0xf bank_mask:0xf// 000000009EE4: 06A2A2FA FF005596
	v_subrev_f32_dpp v82, v150, v82 quad_perm:[2,2,2,2] row_mask:0xf bank_mask:0xf// 000000009EEC: 06A4A4FA FF00AA96
	v_subrev_f32_dpp v83, v150, v83 quad_perm:[3,3,3,3] row_mask:0xf bank_mask:0xf// 000000009EF4: 06A6A6FA FF00FF96
	v_mfma_f32_16x16x16_f16 v[200:203], v[116:117], v[146:147], v[200:203]// 000000009EFC: D3CD00C8 07232574
	v_mul_f32_e32 v78, v54, v78                                // 000000009F04: 0A9C9D36
	v_mul_f32_e32 v79, v55, v79                                // 000000009F08: 0A9E9F37
	v_mul_f32_e32 v80, v56, v80                                // 000000009F0C: 0AA0A138
	v_mfma_f32_16x16x16_f16 v[204:207], v[118:119], v[146:147], v[204:207]// 000000009F10: D3CD00CC 07332576
	v_mul_f32_e32 v81, v57, v81                                // 000000009F18: 0AA2A339
	v_mul_f32_e32 v82, v58, v82                                // 000000009F1C: 0AA4A53A
	v_mul_f32_e32 v83, v59, v83                                // 000000009F20: 0AA6A73B
	v_mfma_f32_16x16x16_f16 v[208:211], v[120:121], v[146:147], v[208:211]// 000000009F24: D3CD00D0 07432578
	v_cvt_pkrtz_f16_f32 v75, v78, v79                          // 000000009F2C: D296004B 00029F4E
	v_cvt_pkrtz_f16_f32 v76, v80, v81                          // 000000009F34: D296004C 0002A350
	v_cvt_pkrtz_f16_f32 v77, v82, v83                          // 000000009F3C: D296004D 0002A752
	v_mfma_f32_16x16x16_f16 v[212:215], v[122:123], v[146:147], v[212:215]// 000000009F44: D3CD00D4 0753257A
	v_mov_b32_dpp v16, v75 quad_perm:[1,0,3,2] row_mask:0xf bank_mask:0xf// 000000009F4C: 7E2002FA FF00B14B
	v_perm_b32 v51, v16, v75, v15                              // 000000009F54: D1ED0033 043E9710
	v_mov_b32_dpp v16, v76 quad_perm:[1,0,3,2] row_mask:0xf bank_mask:0xf// 000000009F5C: 7E2002FA FF00B14C
	v_mfma_f32_16x16x16_f16 v[216:219], v[108:109], v[148:149], v[216:219]// 000000009F64: D3CD00D8 0763296C
	ds_write_b32 v18, v51 offset:20256                         // 000000009F6C: D81A4F20 00003312
	v_mfma_f32_16x16x16_f16 v[220:223], v[110:111], v[148:149], v[220:223]// 000000009F74: D3CD00DC 0773296E
	v_perm_b32 v52, v16, v76, v15                              // 000000009F7C: D1ED0034 043E9910
	v_mov_b32_dpp v16, v77 quad_perm:[1,0,3,2] row_mask:0xf bank_mask:0xf// 000000009F84: 7E2002FA FF00B14D
	v_perm_b32 v53, v16, v77, v15                              // 000000009F8C: D1ED0035 043E9B10
	v_mfma_f32_16x16x16_f16 v[224:227], v[112:113], v[148:149], v[224:227]// 000000009F94: D3CD00E0 07832970
	ds_write_b32 v18, v52 offset:22016                         // 000000009F9C: D81A5600 00003412
	ds_write_b32 v18, v53 offset:22560                         // 000000009FA4: D81A5820 00003512
	v_mfma_f32_16x16x16_f16 v[228:231], v[114:115], v[148:149], v[228:231]// 000000009FAC: D3CD00E4 07932972
	v_mfma_f32_16x16x16_f16 v[232:235], v[116:117], v[148:149], v[232:235]// 000000009FB4: D3CD00E8 07A32974
	ds_write_b32 v13, v84 offset:4352                          // 000000009FBC: D81A1100 0000540D
	ds_write_b32 v13, v85 offset:5408                          // 000000009FC4: D81A1520 0000550D
	v_mfma_f32_16x16x16_f16 v[236:239], v[118:119], v[148:149], v[236:239]// 000000009FCC: D3CD00EC 07B32976
	v_mfma_f32_16x16x16_f16 v[240:243], v[120:121], v[148:149], v[240:243]// 000000009FD4: D3CD00F0 07C32978
	ds_write_b32 v13, v86 offset:4480                          // 000000009FDC: D81A1180 0000560D
	ds_write_b32 v13, v87 offset:5536                          // 000000009FE4: D81A15A0 0000570D
	v_mfma_f32_16x16x16_f16 v[244:247], v[122:123], v[148:149], v[244:247]// 000000009FEC: D3CD00F4 07D3297A
	s_nop 0                                                    // 000000009FF4: BF800000
	s_nop 0                                                    // 000000009FF8: BF800000
	s_nop 0                                                    // 000000009FFC: BF800000
	s_barrier                                                  // 00000000A000: BF8A0000
	v_mfma_f32_16x16x16_f16 a[160:163], a[144:145], v[72:73], a[160:163]// 00000000A004: D3CD80A0 0E829190
	ds_read_b32 v124, v21 offset:50688                         // 00000000A00C: D86CC600 7C000015
	ds_read_b32 v150, v21 offset:50944                         // 00000000A014: D86CC700 96000015
	v_mfma_f32_16x16x16_f16 a[164:167], a[146:147], v[72:73], a[164:167]// 00000000A01C: D3CD80A4 0E929192
	buffer_atomic_add_f32 v136, v7, s[32:35], 0 offen          // 00000000A024: E1341000 80088807
	v_mfma_f32_16x16x16_f16 a[168:171], a[148:149], v[72:73], a[168:171]// 00000000A02C: D3CD80A8 0EA29194
	s_waitcnt lgkmcnt(6)                                       // 00000000A034: BF8CC67F
	s_barrier                                                  // 00000000A038: BF8A0000
	v_mfma_f32_16x16x16_f16 a[172:175], a[150:151], v[72:73], a[172:175]// 00000000A03C: D3CD80AC 0EB29196
	v_mfma_f32_16x16x16_f16 a[176:179], a[152:153], v[72:73], a[176:179]// 00000000A044: D3CD80B0 0EC29198
	ds_read_b128 v[48:51], v17 offset:17408                    // 00000000A04C: D9FE4400 30000011
	v_mfma_f32_16x16x16_f16 a[180:183], a[154:155], v[72:73], a[180:183]// 00000000A054: D3CD80B4 0ED2919A
	v_mfma_f32_16x16x16_f16 a[184:187], a[156:157], v[72:73], a[184:187]// 00000000A05C: D3CD80B8 0EE2919C
	ds_read_b128 v[52:55], v17 offset:18560                    // 00000000A064: D9FE4880 34000011
	v_mfma_f32_16x16x16_f16 a[188:191], a[158:159], v[72:73], a[188:191]// 00000000A06C: D3CD80BC 0EF2919E
	buffer_atomic_add_f32 v137, v8, s[32:35], 0 offen          // 00000000A074: E1341000 80088908
	v_mfma_f32_16x16x16_f16 a[192:195], a[144:145], v[74:75], a[192:195]// 00000000A07C: D3CD80C0 0F029590
	ds_read_b128 v[56:59], v17 offset:19712                    // 00000000A084: D9FE4D00 38000011
	v_mfma_f32_16x16x16_f16 a[196:199], a[146:147], v[74:75], a[196:199]// 00000000A08C: D3CD80C4 0F129592
	v_mfma_f32_16x16x16_f16 a[200:203], a[148:149], v[74:75], a[200:203]// 00000000A094: D3CD80C8 0F229594
	ds_read_b128 v[60:63], v17 offset:20864                    // 00000000A09C: D9FE5180 3C000011
	v_mfma_f32_16x16x16_f16 a[204:207], a[150:151], v[74:75], a[204:207]// 00000000A0A4: D3CD80CC 0F329596
	v_mfma_f32_16x16x16_f16 a[208:211], a[152:153], v[74:75], a[208:211]// 00000000A0AC: D3CD80D0 0F429598
	ds_read_b128 v[64:67], v17 offset:22016                    // 00000000A0B4: D9FE5600 40000011
	v_mfma_f32_16x16x16_f16 a[212:215], a[154:155], v[74:75], a[212:215]// 00000000A0BC: D3CD80D4 0F52959A
	buffer_atomic_add_f32 v138, v7, s[32:35], 0 offen offset:128// 00000000A0C4: E1341080 80088A07
	v_mfma_f32_16x16x16_f16 a[216:219], a[156:157], v[74:75], a[216:219]// 00000000A0CC: D3CD80D8 0F62959C
	ds_read_b128 v[68:71], v17 offset:23168                    // 00000000A0D4: D9FE5A80 44000011
	v_mfma_f32_16x16x16_f16 a[220:223], a[158:159], v[74:75], a[220:223]// 00000000A0DC: D3CD80DC 0F72959E
	v_mfma_f32_16x16x16_f16 a[224:227], a[144:145], v[76:77], a[224:227]// 00000000A0E4: D3CD80E0 0F829990
	ds_write_b32 v13, v88 offset:13056                         // 00000000A0EC: D81A3300 0000580D
	v_mfma_f32_16x16x16_f16 a[228:231], a[146:147], v[76:77], a[228:231]// 00000000A0F4: D3CD80E4 0F929992
	v_mfma_f32_16x16x16_f16 a[232:235], a[148:149], v[76:77], a[232:235]// 00000000A0FC: D3CD80E8 0FA29994
	ds_write_b32 v13, v89 offset:14112                         // 00000000A104: D81A3720 0000590D
	v_mfma_f32_16x16x16_f16 a[236:239], a[150:151], v[76:77], a[236:239]// 00000000A10C: D3CD80EC 0FB29996
	buffer_atomic_add_f32 v139, v8, s[32:35], 0 offen offset:128// 00000000A114: E1341080 80088B08
	v_mfma_f32_16x16x16_f16 a[240:243], a[152:153], v[76:77], a[240:243]// 00000000A11C: D3CD80F0 0FC29998
	ds_write_b32 v13, v90 offset:13184                         // 00000000A124: D81A3380 00005A0D
	v_mfma_f32_16x16x16_f16 a[244:247], a[154:155], v[76:77], a[244:247]// 00000000A12C: D3CD80F4 0FD2999A
	v_mfma_f32_16x16x16_f16 a[248:251], a[156:157], v[76:77], a[248:251]// 00000000A134: D3CD80F8 0FE2999C
	ds_write_b32 v13, v91 offset:14240                         // 00000000A13C: D81A37A0 00005B0D
	v_mfma_f32_16x16x16_f16 a[252:255], a[158:159], v[76:77], a[252:255]// 00000000A144: D3CD80FC 0FF2999E
	s_waitcnt vmcnt(8) lgkmcnt(4)                              // 00000000A14C: BF8C0478
	s_barrier                                                  // 00000000A150: BF8A0000
	v_mfma_f32_16x16x16_f16 v[128:131], v[48:49], a[48:49], 0  // 00000000A154: D3CD0080 12026130
	ds_read_b128 a[144:147], v10                               // 00000000A15C: DBFE0000 9000000A
	v_mov_b32_e32 v32, 0                                       // 00000000A164: 7E400280
	s_mov_b64 exec, s[86:87]                                   // 00000000A168: BEFE0156
	buffer_load_dword v32, v1, s[8:11], 0 idxen                // 00000000A16C: E0502000 80022001
	s_mov_b64 exec, s[84:85]                                   // 00000000A174: BEFE0154
	v_mfma_f32_16x16x16_f16 v[128:131], v[50:51], a[52:53], v[128:131]// 00000000A178: D3CD0080 16026932
	v_cmp_eq_u32_e32 vcc, v124, v151                           // 00000000A180: 7D952F7C
	v_mov_b32_e32 v28, 0                                       // 00000000A184: 7E380280
	v_cndmask_b32_e32 v124, v124, v28, vcc                     // 00000000A188: 00F8397C
	v_mul_f32_e32 v124, s48, v124                              // 00000000A18C: 0AF8F830
	s_nop 0                                                    // 00000000A190: BF800000
	v_mfma_f32_16x16x16_f16 v[128:131], v[52:53], a[56:57], v[128:131]// 00000000A194: D3CD0080 16027134
	ds_read_b128 a[148:151], v10 offset:512                    // 00000000A19C: DBFE0200 9400000A
	v_mov_b32_e32 v33, 0                                       // 00000000A1A4: 7E420280
	s_mov_b64 exec, s[86:87]                                   // 00000000A1A8: BEFE0156
	buffer_load_dword v33, v2, s[8:11], 0 idxen                // 00000000A1AC: E0502000 80022102
	s_mov_b64 exec, s[84:85]                                   // 00000000A1B4: BEFE0154
	v_mfma_f32_16x16x16_f16 v[128:131], v[54:55], a[60:61], v[128:131]// 00000000A1B8: D3CD0080 16027936
	v_mfma_f32_16x16x16_f16 v[128:131], v[56:57], a[64:65], v[128:131]// 00000000A1C0: D3CD0080 16028138
	ds_read_b128 a[152:155], v10 offset:2176                   // 00000000A1C8: DBFE0880 9800000A
	v_mov_b32_e32 v34, 0                                       // 00000000A1D0: 7E440280
	s_mov_b64 exec, s[86:87]                                   // 00000000A1D4: BEFE0156
	buffer_load_dword v34, v3, s[8:11], 0 idxen                // 00000000A1D8: E0502000 80022203
	s_mov_b64 exec, s[84:85]                                   // 00000000A1E0: BEFE0154
	v_mfma_f32_16x16x16_f16 v[128:131], v[58:59], a[68:69], v[128:131]// 00000000A1E4: D3CD0080 1602893A
	v_perm_b32 v84, v37, v36, s63                              // 00000000A1EC: D1ED0054 00FE4925
	v_perm_b32 v85, v37, v36, s64                              // 00000000A1F4: D1ED0055 01024925
	v_mfma_f32_16x16x16_f16 v[128:131], v[60:61], a[72:73], v[128:131]// 00000000A1FC: D3CD0080 1602913C
	ds_read_b128 a[156:159], v10 offset:2688                   // 00000000A204: DBFE0A80 9C00000A
	v_mov_b32_e32 v35, 0                                       // 00000000A20C: 7E460280
	s_mov_b64 exec, s[86:87]                                   // 00000000A210: BEFE0156
	buffer_load_dword v35, v4, s[8:11], 0 idxen                // 00000000A214: E0502000 80022304
	s_mov_b64 exec, s[84:85]                                   // 00000000A21C: BEFE0154
	v_mfma_f32_16x16x16_f16 v[128:131], v[62:63], a[76:77], v[128:131]// 00000000A220: D3CD0080 1602993E
	v_perm_b32 v86, v39, v38, s63                              // 00000000A228: D1ED0056 00FE4D27
	v_perm_b32 v87, v39, v38, s64                              // 00000000A230: D1ED0057 01024D27
	v_mfma_f32_16x16x16_f16 v[128:131], v[64:65], a[80:81], v[128:131]// 00000000A238: D3CD0080 1602A140
	ds_read_b128 v[92:95], v10 offset:8704                     // 00000000A240: D9FE2200 5C00000A
	v_mov_b32_e32 v40, 0                                       // 00000000A248: 7E500280
	s_mov_b64 exec, s[86:87]                                   // 00000000A24C: BEFE0156
	buffer_load_dword v40, v248, s[20:23], 0 idxen             // 00000000A250: E0502000 800528F8
	s_mov_b64 exec, s[84:85]                                   // 00000000A258: BEFE0154
	v_mfma_f32_16x16x16_f16 v[128:131], v[66:67], a[84:85], v[128:131]// 00000000A25C: D3CD0080 1602A942
	v_perm_b32 v88, v45, v44, s63                              // 00000000A264: D1ED0058 00FE592D
	v_perm_b32 v89, v45, v44, s64                              // 00000000A26C: D1ED0059 0102592D
	v_mfma_f32_16x16x16_f16 v[128:131], v[68:69], a[88:89], v[128:131]// 00000000A274: D3CD0080 1602B144
	ds_read_b128 v[96:99], v10 offset:9216                     // 00000000A27C: D9FE2400 6000000A
	v_mov_b32_e32 v41, 0                                       // 00000000A284: 7E520280
	s_mov_b64 exec, s[86:87]                                   // 00000000A288: BEFE0156
	buffer_load_dword v41, v249, s[20:23], 0 idxen             // 00000000A28C: E0502000 800529F9
	s_mov_b64 exec, s[84:85]                                   // 00000000A294: BEFE0154
	v_mfma_f32_16x16x16_f16 v[128:131], v[70:71], a[92:93], v[128:131]// 00000000A298: D3CD0080 1602B946
	v_perm_b32 v90, v47, v46, s63                              // 00000000A2A0: D1ED005A 00FE5D2F
	v_perm_b32 v91, v47, v46, s64                              // 00000000A2A8: D1ED005B 01025D2F
	v_mfma_f32_16x16x16_f16 v[132:135], v[48:49], a[50:51], 0  // 00000000A2B0: D3CD0084 12026530
	ds_read_b128 v[100:103], v10 offset:10880                  // 00000000A2B8: D9FE2A80 6400000A
	v_mov_b32_e32 v42, 0                                       // 00000000A2C0: 7E540280
	s_mov_b64 exec, s[86:87]                                   // 00000000A2C4: BEFE0156
	buffer_load_dword v42, v250, s[20:23], 0 idxen             // 00000000A2C8: E0502000 80052AFA
	s_mov_b64 exec, s[84:85]                                   // 00000000A2D0: BEFE0154
	v_mfma_f32_16x16x16_f16 v[132:135], v[50:51], a[54:55], v[132:135]// 00000000A2D4: D3CD0084 16126D32
	v_mov_b32_dpp v127, v124 quad_perm:[3,3,3,3] row_mask:0xf bank_mask:0xf// 00000000A2DC: 7EFE02FA FF00FF7C
	v_mov_b32_dpp v126, v124 quad_perm:[2,2,2,2] row_mask:0xf bank_mask:0xf// 00000000A2E4: 7EFC02FA FF00AA7C
	v_mfma_f32_16x16x16_f16 v[132:135], v[52:53], a[58:59], v[132:135]// 00000000A2EC: D3CD0084 16127534
	ds_read_b128 v[104:107], v10 offset:11392                  // 00000000A2F4: D9FE2C80 6800000A
	v_mov_b32_e32 v43, 0                                       // 00000000A2FC: 7E560280
	s_mov_b64 exec, s[86:87]                                   // 00000000A300: BEFE0156
	buffer_load_dword v43, v251, s[20:23], 0 idxen             // 00000000A304: E0502000 80052BFB
	s_mov_b64 exec, s[84:85]                                   // 00000000A30C: BEFE0154
	v_mfma_f32_16x16x16_f16 v[132:135], v[54:55], a[62:63], v[132:135]// 00000000A310: D3CD0084 16127D36
	v_mov_b32_dpp v125, v124 quad_perm:[1,1,1,1] row_mask:0xf bank_mask:0xf// 00000000A318: 7EFA02FA FF00557C
	v_mov_b32_dpp v124, v124 quad_perm:[0,0,0,0] row_mask:0xf bank_mask:0xf// 00000000A320: 7EF802FA FF00007C
	s_add_u32 s60, 64, s59                                     // 00000000A328: 803C3BC0
	v_mfma_f32_16x16x16_f16 v[132:135], v[56:57], a[66:67], v[132:135]// 00000000A32C: D3CD0084 16128538
	buffer_load_dword v9, s[24:27], 0 idxen lds                // 00000000A334: E0512000 80060009
	v_mfma_f32_16x16x16_f16 v[132:135], v[58:59], a[70:71], v[132:135]// 00000000A33C: D3CD0084 16128D3A
	s_cmp_lt_u32 s60, s58                                      // 00000000A344: BF0A3A3C
	s_cselect_b32 s68, s68, 0                                  // 00000000A348: 85448044
	s_cselect_b32 s95, s95, 0                                  // 00000000A34C: 855F805F
	s_cselect_b32 s69, s69, 0                                  // 00000000A350: 85458045
	v_mfma_f32_16x16x16_f16 v[132:135], v[60:61], a[74:75], v[132:135]// 00000000A354: D3CD0084 1612953C
	v_add_u32_e32 v1, s68, v1                                  // 00000000A35C: 68020244
	v_add_u32_e32 v2, s68, v2                                  // 00000000A360: 68040444
	v_add_u32_e32 v3, s68, v3                                  // 00000000A364: 68060644
	v_add_u32_e32 v4, s68, v4                                  // 00000000A368: 68080844
	v_mfma_f32_16x16x16_f16 v[132:135], v[62:63], a[78:79], v[132:135]// 00000000A36C: D3CD0084 16129D3E
	v_add_u32_e32 v248, s95, v248                              // 00000000A374: 69F1F05F
	v_add_u32_e32 v249, s95, v249                              // 00000000A378: 69F3F25F
	v_add_u32_e32 v250, s95, v250                              // 00000000A37C: 69F5F45F
	v_add_u32_e32 v251, s95, v251                              // 00000000A380: 69F7F65F
	v_mfma_f32_16x16x16_f16 v[132:135], v[64:65], a[82:83], v[132:135]// 00000000A384: D3CD0084 1612A540
	s_mov_b32 m0, s75                                          // 00000000A38C: BEFC004B
	v_add_u32_e32 v9, s69, v9                                  // 00000000A390: 68121245
	v_mfma_f32_16x16x16_f16 v[132:135], v[66:67], a[86:87], v[132:135]// 00000000A394: D3CD0084 1612AD42
	s_cmp_ge_u32 s59, s99                                      // 00000000A39C: BF09633B
	s_cselect_b32 s66, s67, s66                                // 00000000A3A0: 85424243
	v_mfma_f32_16x16x16_f16 v[132:135], v[68:69], a[90:91], v[132:135]// 00000000A3A4: D3CD0084 1612B544
	s_addk_i32 s59, 0x10                                       // 00000000A3AC: B73B0010
	s_nop 0                                                    // 00000000A3B0: BF800000
	s_cmp_lt_i32 s59, s58                                      // 00000000A3B4: BF043A3B
	v_mfma_f32_16x16x16_f16 v[132:135], v[70:71], a[94:95], v[132:135]// 00000000A3B8: D3CD0084 1612BD46
	s_cbranch_scc0 label_11A8                                  // 00000000A3C0: BF84F82B
	s_branch label_11AB                                        // 00000000A3C4: BF82F82D

000000000000a3c8 <label_198A>:
	buffer_atomic_add_f32 v140, v7, s[32:35], 0 offen offset:256// 00000000A3C8: E1341100 80088C07
	buffer_atomic_add_f32 v141, v8, s[32:35], 0 offen offset:256// 00000000A3D0: E1341100 80088D08
	buffer_atomic_add_f32 v142, v7, s[32:35], 0 offen offset:384// 00000000A3D8: E1341180 80088E07
	buffer_atomic_add_f32 v143, v8, s[32:35], 0 offen offset:384// 00000000A3E0: E1341180 80088F08
	v_add_u32_e32 v7, s66, v7                                  // 00000000A3E8: 680E0E42
	v_add_u32_e32 v8, s66, v8                                  // 00000000A3EC: 68101042
	v_lshrrev_b32_e32 v28, 5, v0                               // 00000000A3F0: 20380085
	v_mul_i32_i24_e32 v25, 0x42, v28                           // 00000000A3F4: 0C3238FF 00000042
	v_and_b32_e32 v28, 31, v0                                  // 00000000A3FC: 2638009F
	v_mul_i32_i24_e32 v29, 2, v28                              // 00000000A400: 0C3A3882
	v_add_u32_e32 v25, v29, v25                                // 00000000A404: 6832331D
	s_mul_i32 s60, s46, 0x420                                  // 00000000A408: 923CFF2E 00000420
	v_add_u32_e32 v25, s60, v25                                // 00000000A410: 6832323C
	v_lshlrev_b32_e32 v25, 2, v25                              // 00000000A414: 24323282
	v_mul_f32_e32 v128, s47, v128                              // 00000000A418: 0B01002F
	v_mul_f32_e32 v129, s47, v129                              // 00000000A41C: 0B03022F
	v_mul_f32_e32 v130, s47, v130                              // 00000000A420: 0B05042F
	v_mul_f32_e32 v131, s47, v131                              // 00000000A424: 0B07062F
	v_mul_f32_e32 v132, s47, v132                              // 00000000A428: 0B09082F
	v_mul_f32_e32 v133, s47, v133                              // 00000000A42C: 0B0B0A2F
	v_mul_f32_e32 v134, s47, v134                              // 00000000A430: 0B0D0C2F
	v_mul_f32_e32 v135, s47, v135                              // 00000000A434: 0B0F0E2F
	ds_write_b64 v20, v[128:129] offset:24320                  // 00000000A438: D89A5F00 00008014
	ds_write_b64 v20, v[130:131] offset:24832                  // 00000000A440: D89A6100 00008214
	ds_write_b64 v20, v[132:133] offset:25344                  // 00000000A448: D89A6300 00008414
	ds_write_b64 v20, v[134:135] offset:25856                  // 00000000A450: D89A6500 00008614
	s_waitcnt lgkmcnt(0)                                       // 00000000A458: BF8CC07F
	s_barrier                                                  // 00000000A45C: BF8A0000
	ds_read_b64 v[136:137], v19 offset:24320                   // 00000000A460: D8EC5F00 88000013
	ds_read_b64 v[138:139], v19 offset:26368                   // 00000000A468: D8EC6700 8A000013
	ds_read_b64 v[140:141], v19 offset:28416                   // 00000000A470: D8EC6F00 8C000013
	ds_read_b64 v[142:143], v19 offset:30464                   // 00000000A478: D8EC7700 8E000013
	s_waitcnt lgkmcnt(0)                                       // 00000000A480: BF8CC07F
	s_barrier                                                  // 00000000A484: BF8A0000
	buffer_atomic_add_f32 v136, v7, s[32:35], 0 offen          // 00000000A488: E1341000 80088807
	buffer_atomic_add_f32 v137, v8, s[32:35], 0 offen          // 00000000A490: E1341000 80088908
	buffer_atomic_add_f32 v138, v7, s[32:35], 0 offen offset:128// 00000000A498: E1341080 80088A07
	buffer_atomic_add_f32 v139, v8, s[32:35], 0 offen offset:128// 00000000A4A0: E1341080 80088B08
	buffer_atomic_add_f32 v140, v7, s[32:35], 0 offen offset:256// 00000000A4A8: E1341100 80088C07
	buffer_atomic_add_f32 v141, v8, s[32:35], 0 offen offset:256// 00000000A4B0: E1341100 80088D08
	buffer_atomic_add_f32 v142, v7, s[32:35], 0 offen offset:384// 00000000A4B8: E1341180 80088E07
	buffer_atomic_add_f32 v143, v8, s[32:35], 0 offen offset:384// 00000000A4C0: E1341180 80088F08
	v_lshrrev_b32_e32 v28, 4, v0                               // 00000000A4C8: 20380084
	v_mul_i32_i24_e32 v24, 2, v28                              // 00000000A4CC: 0C303882
	v_and_b32_e32 v28, 15, v0                                  // 00000000A4D0: 2638008F
	v_mul_i32_i24_e32 v29, 0x42, v28                           // 00000000A4D4: 0C3A38FF 00000042
	v_add_u32_e32 v24, v29, v24                                // 00000000A4DC: 6830311D
	s_mul_i32 s60, s46, 0x420                                  // 00000000A4E0: 923CFF2E 00000420
	v_add_u32_e32 v24, s60, v24                                // 00000000A4E8: 6830303C
	v_lshlrev_b32_e32 v24, 2, v24                              // 00000000A4EC: 24303082
	v_accvgpr_read_b32 v28, a160                               // 00000000A4F0: D3D8401C 180001A0
	v_accvgpr_read_b32 v29, a161                               // 00000000A4F8: D3D8401D 180001A1
	v_mul_f32_e32 v28, s47, v28                                // 00000000A500: 0A38382F
	v_mul_f32_e32 v29, s47, v29                                // 00000000A504: 0A3A3A2F
	v_cvt_pkrtz_f16_f32 v48, v28, v29                          // 00000000A508: D2960030 00023B1C
	v_accvgpr_read_b32 v28, a162                               // 00000000A510: D3D8401C 180001A2
	v_accvgpr_read_b32 v29, a163                               // 00000000A518: D3D8401D 180001A3
	v_mul_f32_e32 v28, s47, v28                                // 00000000A520: 0A38382F
	v_mul_f32_e32 v29, s47, v29                                // 00000000A524: 0A3A3A2F
	v_cvt_pkrtz_f16_f32 v49, v28, v29                          // 00000000A528: D2960031 00023B1C
	v_accvgpr_read_b32 v28, a164                               // 00000000A530: D3D8401C 180001A4
	v_accvgpr_read_b32 v29, a165                               // 00000000A538: D3D8401D 180001A5
	v_mul_f32_e32 v28, s47, v28                                // 00000000A540: 0A38382F
	v_mul_f32_e32 v29, s47, v29                                // 00000000A544: 0A3A3A2F
	v_cvt_pkrtz_f16_f32 v50, v28, v29                          // 00000000A548: D2960032 00023B1C
	v_accvgpr_read_b32 v28, a166                               // 00000000A550: D3D8401C 180001A6
	v_accvgpr_read_b32 v29, a167                               // 00000000A558: D3D8401D 180001A7
	v_mul_f32_e32 v28, s47, v28                                // 00000000A560: 0A38382F
	v_mul_f32_e32 v29, s47, v29                                // 00000000A564: 0A3A3A2F
	v_cvt_pkrtz_f16_f32 v51, v28, v29                          // 00000000A568: D2960033 00023B1C
	v_accvgpr_read_b32 v28, a168                               // 00000000A570: D3D8401C 180001A8
	v_accvgpr_read_b32 v29, a169                               // 00000000A578: D3D8401D 180001A9
	v_mul_f32_e32 v28, s47, v28                                // 00000000A580: 0A38382F
	v_mul_f32_e32 v29, s47, v29                                // 00000000A584: 0A3A3A2F
	v_cvt_pkrtz_f16_f32 v52, v28, v29                          // 00000000A588: D2960034 00023B1C
	v_accvgpr_read_b32 v28, a170                               // 00000000A590: D3D8401C 180001AA
	v_accvgpr_read_b32 v29, a171                               // 00000000A598: D3D8401D 180001AB
	v_mul_f32_e32 v28, s47, v28                                // 00000000A5A0: 0A38382F
	v_mul_f32_e32 v29, s47, v29                                // 00000000A5A4: 0A3A3A2F
	v_cvt_pkrtz_f16_f32 v53, v28, v29                          // 00000000A5A8: D2960035 00023B1C
	v_accvgpr_read_b32 v28, a172                               // 00000000A5B0: D3D8401C 180001AC
	v_accvgpr_read_b32 v29, a173                               // 00000000A5B8: D3D8401D 180001AD
	v_mul_f32_e32 v28, s47, v28                                // 00000000A5C0: 0A38382F
	v_mul_f32_e32 v29, s47, v29                                // 00000000A5C4: 0A3A3A2F
	v_cvt_pkrtz_f16_f32 v54, v28, v29                          // 00000000A5C8: D2960036 00023B1C
	v_accvgpr_read_b32 v28, a174                               // 00000000A5D0: D3D8401C 180001AE
	v_accvgpr_read_b32 v29, a175                               // 00000000A5D8: D3D8401D 180001AF
	v_mul_f32_e32 v28, s47, v28                                // 00000000A5E0: 0A38382F
	v_mul_f32_e32 v29, s47, v29                                // 00000000A5E4: 0A3A3A2F
	v_cvt_pkrtz_f16_f32 v55, v28, v29                          // 00000000A5E8: D2960037 00023B1C
	v_accvgpr_read_b32 v28, a176                               // 00000000A5F0: D3D8401C 180001B0
	v_accvgpr_read_b32 v29, a177                               // 00000000A5F8: D3D8401D 180001B1
	v_mul_f32_e32 v28, s47, v28                                // 00000000A600: 0A38382F
	v_mul_f32_e32 v29, s47, v29                                // 00000000A604: 0A3A3A2F
	v_cvt_pkrtz_f16_f32 v56, v28, v29                          // 00000000A608: D2960038 00023B1C
	v_accvgpr_read_b32 v28, a178                               // 00000000A610: D3D8401C 180001B2
	v_accvgpr_read_b32 v29, a179                               // 00000000A618: D3D8401D 180001B3
	v_mul_f32_e32 v28, s47, v28                                // 00000000A620: 0A38382F
	v_mul_f32_e32 v29, s47, v29                                // 00000000A624: 0A3A3A2F
	v_cvt_pkrtz_f16_f32 v57, v28, v29                          // 00000000A628: D2960039 00023B1C
	v_accvgpr_read_b32 v28, a180                               // 00000000A630: D3D8401C 180001B4
	v_accvgpr_read_b32 v29, a181                               // 00000000A638: D3D8401D 180001B5
	v_mul_f32_e32 v28, s47, v28                                // 00000000A640: 0A38382F
	v_mul_f32_e32 v29, s47, v29                                // 00000000A644: 0A3A3A2F
	v_cvt_pkrtz_f16_f32 v58, v28, v29                          // 00000000A648: D296003A 00023B1C
	v_accvgpr_read_b32 v28, a182                               // 00000000A650: D3D8401C 180001B6
	v_accvgpr_read_b32 v29, a183                               // 00000000A658: D3D8401D 180001B7
	v_mul_f32_e32 v28, s47, v28                                // 00000000A660: 0A38382F
	v_mul_f32_e32 v29, s47, v29                                // 00000000A664: 0A3A3A2F
	v_cvt_pkrtz_f16_f32 v59, v28, v29                          // 00000000A668: D296003B 00023B1C
	v_accvgpr_read_b32 v28, a184                               // 00000000A670: D3D8401C 180001B8
	v_accvgpr_read_b32 v29, a185                               // 00000000A678: D3D8401D 180001B9
	v_mul_f32_e32 v28, s47, v28                                // 00000000A680: 0A38382F
	v_mul_f32_e32 v29, s47, v29                                // 00000000A684: 0A3A3A2F
	v_cvt_pkrtz_f16_f32 v60, v28, v29                          // 00000000A688: D296003C 00023B1C
	v_accvgpr_read_b32 v28, a186                               // 00000000A690: D3D8401C 180001BA
	v_accvgpr_read_b32 v29, a187                               // 00000000A698: D3D8401D 180001BB
	v_mul_f32_e32 v28, s47, v28                                // 00000000A6A0: 0A38382F
	v_mul_f32_e32 v29, s47, v29                                // 00000000A6A4: 0A3A3A2F
	v_cvt_pkrtz_f16_f32 v61, v28, v29                          // 00000000A6A8: D296003D 00023B1C
	v_accvgpr_read_b32 v28, a188                               // 00000000A6B0: D3D8401C 180001BC
	v_accvgpr_read_b32 v29, a189                               // 00000000A6B8: D3D8401D 180001BD
	v_mul_f32_e32 v28, s47, v28                                // 00000000A6C0: 0A38382F
	v_mul_f32_e32 v29, s47, v29                                // 00000000A6C4: 0A3A3A2F
	v_cvt_pkrtz_f16_f32 v62, v28, v29                          // 00000000A6C8: D296003E 00023B1C
	v_accvgpr_read_b32 v28, a190                               // 00000000A6D0: D3D8401C 180001BE
	v_accvgpr_read_b32 v29, a191                               // 00000000A6D8: D3D8401D 180001BF
	v_mul_f32_e32 v28, s47, v28                                // 00000000A6E0: 0A38382F
	v_mul_f32_e32 v29, s47, v29                                // 00000000A6E4: 0A3A3A2F
	v_cvt_pkrtz_f16_f32 v63, v28, v29                          // 00000000A6E8: D296003F 00023B1C
	ds_write_b64 v25, v[48:49]                                 // 00000000A6F0: D89A0000 00003019
	ds_write_b64 v25, v[50:51] offset:528                      // 00000000A6F8: D89A0210 00003219
	ds_write_b64 v25, v[52:53] offset:1056                     // 00000000A700: D89A0420 00003419
	ds_write_b64 v25, v[54:55] offset:1584                     // 00000000A708: D89A0630 00003619
	ds_write_b64 v25, v[56:57] offset:2112                     // 00000000A710: D89A0840 00003819
	ds_write_b64 v25, v[58:59] offset:2640                     // 00000000A718: D89A0A50 00003A19
	ds_write_b64 v25, v[60:61] offset:3168                     // 00000000A720: D89A0C60 00003C19
	ds_write_b64 v25, v[62:63] offset:3696                     // 00000000A728: D89A0E70 00003E19
	s_waitcnt lgkmcnt(0)                                       // 00000000A730: BF8CC07F
	s_barrier                                                  // 00000000A734: BF8A0000
	ds_read_b64 v[48:49], v24                                  // 00000000A738: D8EC0000 30000018
	ds_read_b64 v[50:51], v24 offset:128                       // 00000000A740: D8EC0080 32000018
	ds_read_b64 v[52:53], v24 offset:32                        // 00000000A748: D8EC0020 34000018
	ds_read_b64 v[54:55], v24 offset:160                       // 00000000A750: D8EC00A0 36000018
	ds_read_b64 v[56:57], v24 offset:64                        // 00000000A758: D8EC0040 38000018
	ds_read_b64 v[58:59], v24 offset:192                       // 00000000A760: D8EC00C0 3A000018
	ds_read_b64 v[60:61], v24 offset:96                        // 00000000A768: D8EC0060 3C000018
	ds_read_b64 v[62:63], v24 offset:224                       // 00000000A770: D8EC00E0 3E000018
	s_waitcnt lgkmcnt(0)                                       // 00000000A778: BF8CC07F
	s_mov_b32 s70, s52                                         // 00000000A77C: BEC60034
	s_mov_b64 exec, s[88:89]                                   // 00000000A780: BEFE0158
	buffer_store_dwordx4 v[48:51], v5, s[36:39], 0 idxen       // 00000000A784: E07C2000 80093005
	s_mov_b64 exec, s[84:85]                                   // 00000000A78C: BEFE0154
	v_add_u32_e32 v5, s70, v5                                  // 00000000A790: 680A0A46
	s_mov_b64 exec, s[88:89]                                   // 00000000A794: BEFE0158
	buffer_store_dwordx4 v[52:55], v5, s[36:39], 0 idxen       // 00000000A798: E07C2000 80093405
	s_mov_b64 exec, s[84:85]                                   // 00000000A7A0: BEFE0154
	v_add_u32_e32 v5, s70, v5                                  // 00000000A7A4: 680A0A46
	s_mov_b64 exec, s[88:89]                                   // 00000000A7A8: BEFE0158
	buffer_store_dwordx4 v[56:59], v5, s[36:39], 0 idxen       // 00000000A7AC: E07C2000 80093805
	s_mov_b64 exec, s[84:85]                                   // 00000000A7B4: BEFE0154
	v_add_u32_e32 v5, s70, v5                                  // 00000000A7B8: 680A0A46
	s_mov_b64 exec, s[88:89]                                   // 00000000A7BC: BEFE0158
	buffer_store_dwordx4 v[60:63], v5, s[36:39], 0 idxen       // 00000000A7C0: E07C2000 80093C05
	s_mov_b64 exec, s[84:85]                                   // 00000000A7C8: BEFE0154
	v_add_u32_e32 v5, s70, v5                                  // 00000000A7CC: 680A0A46
	s_mul_i32 s60, 12, s70                                     // 00000000A7D0: 923C468C
	v_add_u32_e32 v5, s60, v5                                  // 00000000A7D4: 680A0A3C
	s_barrier                                                  // 00000000A7D8: BF8A0000
	s_cmp_ge_i32 1, s73                                        // 00000000A7DC: BF034981
	s_cbranch_scc1 label_1C0B                                  // 00000000A7E0: BF85017A
	v_accvgpr_read_b32 v28, a192                               // 00000000A7E4: D3D8401C 180001C0
	v_accvgpr_read_b32 v29, a193                               // 00000000A7EC: D3D8401D 180001C1
	v_mul_f32_e32 v28, s47, v28                                // 00000000A7F4: 0A38382F
	v_mul_f32_e32 v29, s47, v29                                // 00000000A7F8: 0A3A3A2F
	v_cvt_pkrtz_f16_f32 v64, v28, v29                          // 00000000A7FC: D2960040 00023B1C
	v_accvgpr_read_b32 v28, a194                               // 00000000A804: D3D8401C 180001C2
	v_accvgpr_read_b32 v29, a195                               // 00000000A80C: D3D8401D 180001C3
	v_mul_f32_e32 v28, s47, v28                                // 00000000A814: 0A38382F
	v_mul_f32_e32 v29, s47, v29                                // 00000000A818: 0A3A3A2F
	v_cvt_pkrtz_f16_f32 v65, v28, v29                          // 00000000A81C: D2960041 00023B1C
	v_accvgpr_read_b32 v28, a196                               // 00000000A824: D3D8401C 180001C4
	v_accvgpr_read_b32 v29, a197                               // 00000000A82C: D3D8401D 180001C5
	v_mul_f32_e32 v28, s47, v28                                // 00000000A834: 0A38382F
	v_mul_f32_e32 v29, s47, v29                                // 00000000A838: 0A3A3A2F
	v_cvt_pkrtz_f16_f32 v66, v28, v29                          // 00000000A83C: D2960042 00023B1C
	v_accvgpr_read_b32 v28, a198                               // 00000000A844: D3D8401C 180001C6
	v_accvgpr_read_b32 v29, a199                               // 00000000A84C: D3D8401D 180001C7
	v_mul_f32_e32 v28, s47, v28                                // 00000000A854: 0A38382F
	v_mul_f32_e32 v29, s47, v29                                // 00000000A858: 0A3A3A2F
	v_cvt_pkrtz_f16_f32 v67, v28, v29                          // 00000000A85C: D2960043 00023B1C
	v_accvgpr_read_b32 v28, a200                               // 00000000A864: D3D8401C 180001C8
	v_accvgpr_read_b32 v29, a201                               // 00000000A86C: D3D8401D 180001C9
	v_mul_f32_e32 v28, s47, v28                                // 00000000A874: 0A38382F
	v_mul_f32_e32 v29, s47, v29                                // 00000000A878: 0A3A3A2F
	v_cvt_pkrtz_f16_f32 v68, v28, v29                          // 00000000A87C: D2960044 00023B1C
	v_accvgpr_read_b32 v28, a202                               // 00000000A884: D3D8401C 180001CA
	v_accvgpr_read_b32 v29, a203                               // 00000000A88C: D3D8401D 180001CB
	v_mul_f32_e32 v28, s47, v28                                // 00000000A894: 0A38382F
	v_mul_f32_e32 v29, s47, v29                                // 00000000A898: 0A3A3A2F
	v_cvt_pkrtz_f16_f32 v69, v28, v29                          // 00000000A89C: D2960045 00023B1C
	v_accvgpr_read_b32 v28, a204                               // 00000000A8A4: D3D8401C 180001CC
	v_accvgpr_read_b32 v29, a205                               // 00000000A8AC: D3D8401D 180001CD
	v_mul_f32_e32 v28, s47, v28                                // 00000000A8B4: 0A38382F
	v_mul_f32_e32 v29, s47, v29                                // 00000000A8B8: 0A3A3A2F
	v_cvt_pkrtz_f16_f32 v70, v28, v29                          // 00000000A8BC: D2960046 00023B1C
	v_accvgpr_read_b32 v28, a206                               // 00000000A8C4: D3D8401C 180001CE
	v_accvgpr_read_b32 v29, a207                               // 00000000A8CC: D3D8401D 180001CF
	v_mul_f32_e32 v28, s47, v28                                // 00000000A8D4: 0A38382F
	v_mul_f32_e32 v29, s47, v29                                // 00000000A8D8: 0A3A3A2F
	v_cvt_pkrtz_f16_f32 v71, v28, v29                          // 00000000A8DC: D2960047 00023B1C
	v_accvgpr_read_b32 v28, a208                               // 00000000A8E4: D3D8401C 180001D0
	v_accvgpr_read_b32 v29, a209                               // 00000000A8EC: D3D8401D 180001D1
	v_mul_f32_e32 v28, s47, v28                                // 00000000A8F4: 0A38382F
	v_mul_f32_e32 v29, s47, v29                                // 00000000A8F8: 0A3A3A2F
	v_cvt_pkrtz_f16_f32 v72, v28, v29                          // 00000000A8FC: D2960048 00023B1C
	v_accvgpr_read_b32 v28, a210                               // 00000000A904: D3D8401C 180001D2
	v_accvgpr_read_b32 v29, a211                               // 00000000A90C: D3D8401D 180001D3
	v_mul_f32_e32 v28, s47, v28                                // 00000000A914: 0A38382F
	v_mul_f32_e32 v29, s47, v29                                // 00000000A918: 0A3A3A2F
	v_cvt_pkrtz_f16_f32 v73, v28, v29                          // 00000000A91C: D2960049 00023B1C
	v_accvgpr_read_b32 v28, a212                               // 00000000A924: D3D8401C 180001D4
	v_accvgpr_read_b32 v29, a213                               // 00000000A92C: D3D8401D 180001D5
	v_mul_f32_e32 v28, s47, v28                                // 00000000A934: 0A38382F
	v_mul_f32_e32 v29, s47, v29                                // 00000000A938: 0A3A3A2F
	v_cvt_pkrtz_f16_f32 v74, v28, v29                          // 00000000A93C: D296004A 00023B1C
	v_accvgpr_read_b32 v28, a214                               // 00000000A944: D3D8401C 180001D6
	v_accvgpr_read_b32 v29, a215                               // 00000000A94C: D3D8401D 180001D7
	v_mul_f32_e32 v28, s47, v28                                // 00000000A954: 0A38382F
	v_mul_f32_e32 v29, s47, v29                                // 00000000A958: 0A3A3A2F
	v_cvt_pkrtz_f16_f32 v75, v28, v29                          // 00000000A95C: D296004B 00023B1C
	v_accvgpr_read_b32 v28, a216                               // 00000000A964: D3D8401C 180001D8
	v_accvgpr_read_b32 v29, a217                               // 00000000A96C: D3D8401D 180001D9
	v_mul_f32_e32 v28, s47, v28                                // 00000000A974: 0A38382F
	v_mul_f32_e32 v29, s47, v29                                // 00000000A978: 0A3A3A2F
	v_cvt_pkrtz_f16_f32 v76, v28, v29                          // 00000000A97C: D296004C 00023B1C
	v_accvgpr_read_b32 v28, a218                               // 00000000A984: D3D8401C 180001DA
	v_accvgpr_read_b32 v29, a219                               // 00000000A98C: D3D8401D 180001DB
	v_mul_f32_e32 v28, s47, v28                                // 00000000A994: 0A38382F
	v_mul_f32_e32 v29, s47, v29                                // 00000000A998: 0A3A3A2F
	v_cvt_pkrtz_f16_f32 v77, v28, v29                          // 00000000A99C: D296004D 00023B1C
	v_accvgpr_read_b32 v28, a220                               // 00000000A9A4: D3D8401C 180001DC
	v_accvgpr_read_b32 v29, a221                               // 00000000A9AC: D3D8401D 180001DD
	v_mul_f32_e32 v28, s47, v28                                // 00000000A9B4: 0A38382F
	v_mul_f32_e32 v29, s47, v29                                // 00000000A9B8: 0A3A3A2F
	v_cvt_pkrtz_f16_f32 v78, v28, v29                          // 00000000A9BC: D296004E 00023B1C
	v_accvgpr_read_b32 v28, a222                               // 00000000A9C4: D3D8401C 180001DE
	v_accvgpr_read_b32 v29, a223                               // 00000000A9CC: D3D8401D 180001DF
	v_mul_f32_e32 v28, s47, v28                                // 00000000A9D4: 0A38382F
	v_mul_f32_e32 v29, s47, v29                                // 00000000A9D8: 0A3A3A2F
	v_cvt_pkrtz_f16_f32 v79, v28, v29                          // 00000000A9DC: D296004F 00023B1C
	ds_write_b64 v25, v[64:65] offset:16896                    // 00000000A9E4: D89A4200 00004019
	ds_write_b64 v25, v[66:67] offset:17424                    // 00000000A9EC: D89A4410 00004219
	ds_write_b64 v25, v[68:69] offset:17952                    // 00000000A9F4: D89A4620 00004419
	ds_write_b64 v25, v[70:71] offset:18480                    // 00000000A9FC: D89A4830 00004619
	ds_write_b64 v25, v[72:73] offset:19008                    // 00000000AA04: D89A4A40 00004819
	ds_write_b64 v25, v[74:75] offset:19536                    // 00000000AA0C: D89A4C50 00004A19
	ds_write_b64 v25, v[76:77] offset:20064                    // 00000000AA14: D89A4E60 00004C19
	ds_write_b64 v25, v[78:79] offset:20592                    // 00000000AA1C: D89A5070 00004E19
	s_waitcnt lgkmcnt(0)                                       // 00000000AA24: BF8CC07F
	s_barrier                                                  // 00000000AA28: BF8A0000
	ds_read_b64 v[64:65], v24 offset:16896                     // 00000000AA2C: D8EC4200 40000018
	ds_read_b64 v[66:67], v24 offset:17024                     // 00000000AA34: D8EC4280 42000018
	ds_read_b64 v[68:69], v24 offset:16928                     // 00000000AA3C: D8EC4220 44000018
	ds_read_b64 v[70:71], v24 offset:17056                     // 00000000AA44: D8EC42A0 46000018
	ds_read_b64 v[72:73], v24 offset:16960                     // 00000000AA4C: D8EC4240 48000018
	ds_read_b64 v[74:75], v24 offset:17088                     // 00000000AA54: D8EC42C0 4A000018
	ds_read_b64 v[76:77], v24 offset:16992                     // 00000000AA5C: D8EC4260 4C000018
	ds_read_b64 v[78:79], v24 offset:17120                     // 00000000AA64: D8EC42E0 4E000018
	s_waitcnt lgkmcnt(0)                                       // 00000000AA6C: BF8CC07F
	s_mov_b32 s70, s52                                         // 00000000AA70: BEC60034
	s_mov_b64 exec, s[88:89]                                   // 00000000AA74: BEFE0158
	buffer_store_dwordx4 v[64:67], v5, s[36:39], 0 idxen       // 00000000AA78: E07C2000 80094005
	s_mov_b64 exec, s[84:85]                                   // 00000000AA80: BEFE0154
	v_add_u32_e32 v5, s70, v5                                  // 00000000AA84: 680A0A46
	s_mov_b64 exec, s[88:89]                                   // 00000000AA88: BEFE0158
	buffer_store_dwordx4 v[68:71], v5, s[36:39], 0 idxen       // 00000000AA8C: E07C2000 80094405
	s_mov_b64 exec, s[84:85]                                   // 00000000AA94: BEFE0154
	v_add_u32_e32 v5, s70, v5                                  // 00000000AA98: 680A0A46
	s_mov_b64 exec, s[88:89]                                   // 00000000AA9C: BEFE0158
	buffer_store_dwordx4 v[72:75], v5, s[36:39], 0 idxen       // 00000000AAA0: E07C2000 80094805
	s_mov_b64 exec, s[84:85]                                   // 00000000AAA8: BEFE0154
	v_add_u32_e32 v5, s70, v5                                  // 00000000AAAC: 680A0A46
	s_mov_b64 exec, s[88:89]                                   // 00000000AAB0: BEFE0158
	buffer_store_dwordx4 v[76:79], v5, s[36:39], 0 idxen       // 00000000AAB4: E07C2000 80094C05
	s_mov_b64 exec, s[84:85]                                   // 00000000AABC: BEFE0154
	v_add_u32_e32 v5, s70, v5                                  // 00000000AAC0: 680A0A46
	s_mul_i32 s60, 12, s70                                     // 00000000AAC4: 923C468C
	v_add_u32_e32 v5, s60, v5                                  // 00000000AAC8: 680A0A3C
	s_barrier                                                  // 00000000AACC: BF8A0000
	s_cmp_ge_i32 2, s73                                        // 00000000AAD0: BF034982
	s_cbranch_scc1 label_1C0B                                  // 00000000AAD4: BF8500BD
	v_accvgpr_read_b32 v28, a224                               // 00000000AAD8: D3D8401C 180001E0
	v_accvgpr_read_b32 v29, a225                               // 00000000AAE0: D3D8401D 180001E1
	v_mul_f32_e32 v28, s47, v28                                // 00000000AAE8: 0A38382F
	v_mul_f32_e32 v29, s47, v29                                // 00000000AAEC: 0A3A3A2F
	v_cvt_pkrtz_f16_f32 v80, v28, v29                          // 00000000AAF0: D2960050 00023B1C
	v_accvgpr_read_b32 v28, a226                               // 00000000AAF8: D3D8401C 180001E2
	v_accvgpr_read_b32 v29, a227                               // 00000000AB00: D3D8401D 180001E3
	v_mul_f32_e32 v28, s47, v28                                // 00000000AB08: 0A38382F
	v_mul_f32_e32 v29, s47, v29                                // 00000000AB0C: 0A3A3A2F
	v_cvt_pkrtz_f16_f32 v81, v28, v29                          // 00000000AB10: D2960051 00023B1C
	v_accvgpr_read_b32 v28, a228                               // 00000000AB18: D3D8401C 180001E4
	v_accvgpr_read_b32 v29, a229                               // 00000000AB20: D3D8401D 180001E5
	v_mul_f32_e32 v28, s47, v28                                // 00000000AB28: 0A38382F
	v_mul_f32_e32 v29, s47, v29                                // 00000000AB2C: 0A3A3A2F
	v_cvt_pkrtz_f16_f32 v82, v28, v29                          // 00000000AB30: D2960052 00023B1C
	v_accvgpr_read_b32 v28, a230                               // 00000000AB38: D3D8401C 180001E6
	v_accvgpr_read_b32 v29, a231                               // 00000000AB40: D3D8401D 180001E7
	v_mul_f32_e32 v28, s47, v28                                // 00000000AB48: 0A38382F
	v_mul_f32_e32 v29, s47, v29                                // 00000000AB4C: 0A3A3A2F
	v_cvt_pkrtz_f16_f32 v83, v28, v29                          // 00000000AB50: D2960053 00023B1C
	v_accvgpr_read_b32 v28, a232                               // 00000000AB58: D3D8401C 180001E8
	v_accvgpr_read_b32 v29, a233                               // 00000000AB60: D3D8401D 180001E9
	v_mul_f32_e32 v28, s47, v28                                // 00000000AB68: 0A38382F
	v_mul_f32_e32 v29, s47, v29                                // 00000000AB6C: 0A3A3A2F
	v_cvt_pkrtz_f16_f32 v84, v28, v29                          // 00000000AB70: D2960054 00023B1C
	v_accvgpr_read_b32 v28, a234                               // 00000000AB78: D3D8401C 180001EA
	v_accvgpr_read_b32 v29, a235                               // 00000000AB80: D3D8401D 180001EB
	v_mul_f32_e32 v28, s47, v28                                // 00000000AB88: 0A38382F
	v_mul_f32_e32 v29, s47, v29                                // 00000000AB8C: 0A3A3A2F
	v_cvt_pkrtz_f16_f32 v85, v28, v29                          // 00000000AB90: D2960055 00023B1C
	v_accvgpr_read_b32 v28, a236                               // 00000000AB98: D3D8401C 180001EC
	v_accvgpr_read_b32 v29, a237                               // 00000000ABA0: D3D8401D 180001ED
	v_mul_f32_e32 v28, s47, v28                                // 00000000ABA8: 0A38382F
	v_mul_f32_e32 v29, s47, v29                                // 00000000ABAC: 0A3A3A2F
	v_cvt_pkrtz_f16_f32 v86, v28, v29                          // 00000000ABB0: D2960056 00023B1C
	v_accvgpr_read_b32 v28, a238                               // 00000000ABB8: D3D8401C 180001EE
	v_accvgpr_read_b32 v29, a239                               // 00000000ABC0: D3D8401D 180001EF
	v_mul_f32_e32 v28, s47, v28                                // 00000000ABC8: 0A38382F
	v_mul_f32_e32 v29, s47, v29                                // 00000000ABCC: 0A3A3A2F
	v_cvt_pkrtz_f16_f32 v87, v28, v29                          // 00000000ABD0: D2960057 00023B1C
	v_accvgpr_read_b32 v28, a240                               // 00000000ABD8: D3D8401C 180001F0
	v_accvgpr_read_b32 v29, a241                               // 00000000ABE0: D3D8401D 180001F1
	v_mul_f32_e32 v28, s47, v28                                // 00000000ABE8: 0A38382F
	v_mul_f32_e32 v29, s47, v29                                // 00000000ABEC: 0A3A3A2F
	v_cvt_pkrtz_f16_f32 v88, v28, v29                          // 00000000ABF0: D2960058 00023B1C
	v_accvgpr_read_b32 v28, a242                               // 00000000ABF8: D3D8401C 180001F2
	v_accvgpr_read_b32 v29, a243                               // 00000000AC00: D3D8401D 180001F3
	v_mul_f32_e32 v28, s47, v28                                // 00000000AC08: 0A38382F
	v_mul_f32_e32 v29, s47, v29                                // 00000000AC0C: 0A3A3A2F
	v_cvt_pkrtz_f16_f32 v89, v28, v29                          // 00000000AC10: D2960059 00023B1C
	v_accvgpr_read_b32 v28, a244                               // 00000000AC18: D3D8401C 180001F4
	v_accvgpr_read_b32 v29, a245                               // 00000000AC20: D3D8401D 180001F5
	v_mul_f32_e32 v28, s47, v28                                // 00000000AC28: 0A38382F
	v_mul_f32_e32 v29, s47, v29                                // 00000000AC2C: 0A3A3A2F
	v_cvt_pkrtz_f16_f32 v90, v28, v29                          // 00000000AC30: D296005A 00023B1C
	v_accvgpr_read_b32 v28, a246                               // 00000000AC38: D3D8401C 180001F6
	v_accvgpr_read_b32 v29, a247                               // 00000000AC40: D3D8401D 180001F7
	v_mul_f32_e32 v28, s47, v28                                // 00000000AC48: 0A38382F
	v_mul_f32_e32 v29, s47, v29                                // 00000000AC4C: 0A3A3A2F
	v_cvt_pkrtz_f16_f32 v91, v28, v29                          // 00000000AC50: D296005B 00023B1C
	v_accvgpr_read_b32 v28, a248                               // 00000000AC58: D3D8401C 180001F8
	v_accvgpr_read_b32 v29, a249                               // 00000000AC60: D3D8401D 180001F9
	v_mul_f32_e32 v28, s47, v28                                // 00000000AC68: 0A38382F
	v_mul_f32_e32 v29, s47, v29                                // 00000000AC6C: 0A3A3A2F
	v_cvt_pkrtz_f16_f32 v92, v28, v29                          // 00000000AC70: D296005C 00023B1C
	v_accvgpr_read_b32 v28, a250                               // 00000000AC78: D3D8401C 180001FA
	v_accvgpr_read_b32 v29, a251                               // 00000000AC80: D3D8401D 180001FB
	v_mul_f32_e32 v28, s47, v28                                // 00000000AC88: 0A38382F
	v_mul_f32_e32 v29, s47, v29                                // 00000000AC8C: 0A3A3A2F
	v_cvt_pkrtz_f16_f32 v93, v28, v29                          // 00000000AC90: D296005D 00023B1C
	v_accvgpr_read_b32 v28, a252                               // 00000000AC98: D3D8401C 180001FC
	v_accvgpr_read_b32 v29, a253                               // 00000000ACA0: D3D8401D 180001FD
	v_mul_f32_e32 v28, s47, v28                                // 00000000ACA8: 0A38382F
	v_mul_f32_e32 v29, s47, v29                                // 00000000ACAC: 0A3A3A2F
	v_cvt_pkrtz_f16_f32 v94, v28, v29                          // 00000000ACB0: D296005E 00023B1C
	v_accvgpr_read_b32 v28, a254                               // 00000000ACB8: D3D8401C 180001FE
	v_accvgpr_read_b32 v29, a255                               // 00000000ACC0: D3D8401D 180001FF
	v_mul_f32_e32 v28, s47, v28                                // 00000000ACC8: 0A38382F
	v_mul_f32_e32 v29, s47, v29                                // 00000000ACCC: 0A3A3A2F
	v_cvt_pkrtz_f16_f32 v95, v28, v29                          // 00000000ACD0: D296005F 00023B1C
	ds_write_b64 v25, v[80:81] offset:33792                    // 00000000ACD8: D89A8400 00005019
	ds_write_b64 v25, v[82:83] offset:34320                    // 00000000ACE0: D89A8610 00005219
	ds_write_b64 v25, v[84:85] offset:34848                    // 00000000ACE8: D89A8820 00005419
	ds_write_b64 v25, v[86:87] offset:35376                    // 00000000ACF0: D89A8A30 00005619
	ds_write_b64 v25, v[88:89] offset:35904                    // 00000000ACF8: D89A8C40 00005819
	ds_write_b64 v25, v[90:91] offset:36432                    // 00000000AD00: D89A8E50 00005A19
	ds_write_b64 v25, v[92:93] offset:36960                    // 00000000AD08: D89A9060 00005C19
	ds_write_b64 v25, v[94:95] offset:37488                    // 00000000AD10: D89A9270 00005E19
	s_waitcnt lgkmcnt(0)                                       // 00000000AD18: BF8CC07F
	s_barrier                                                  // 00000000AD1C: BF8A0000
	ds_read_b64 v[80:81], v24 offset:33792                     // 00000000AD20: D8EC8400 50000018
	ds_read_b64 v[82:83], v24 offset:33920                     // 00000000AD28: D8EC8480 52000018
	ds_read_b64 v[84:85], v24 offset:33824                     // 00000000AD30: D8EC8420 54000018
	ds_read_b64 v[86:87], v24 offset:33952                     // 00000000AD38: D8EC84A0 56000018
	ds_read_b64 v[88:89], v24 offset:33856                     // 00000000AD40: D8EC8440 58000018
	ds_read_b64 v[90:91], v24 offset:33984                     // 00000000AD48: D8EC84C0 5A000018
	ds_read_b64 v[92:93], v24 offset:33888                     // 00000000AD50: D8EC8460 5C000018
	ds_read_b64 v[94:95], v24 offset:34016                     // 00000000AD58: D8EC84E0 5E000018
	s_waitcnt lgkmcnt(0)                                       // 00000000AD60: BF8CC07F
	s_mov_b32 s70, s52                                         // 00000000AD64: BEC60034
	s_mov_b64 exec, s[88:89]                                   // 00000000AD68: BEFE0158
	buffer_store_dwordx4 v[80:83], v5, s[36:39], 0 idxen       // 00000000AD6C: E07C2000 80095005
	s_mov_b64 exec, s[84:85]                                   // 00000000AD74: BEFE0154
	v_add_u32_e32 v5, s70, v5                                  // 00000000AD78: 680A0A46
	s_mov_b64 exec, s[88:89]                                   // 00000000AD7C: BEFE0158
	buffer_store_dwordx4 v[84:87], v5, s[36:39], 0 idxen       // 00000000AD80: E07C2000 80095405
	s_mov_b64 exec, s[84:85]                                   // 00000000AD88: BEFE0154
	v_add_u32_e32 v5, s70, v5                                  // 00000000AD8C: 680A0A46
	s_mov_b64 exec, s[88:89]                                   // 00000000AD90: BEFE0158
	buffer_store_dwordx4 v[88:91], v5, s[36:39], 0 idxen       // 00000000AD94: E07C2000 80095805
	s_mov_b64 exec, s[84:85]                                   // 00000000AD9C: BEFE0154
	v_add_u32_e32 v5, s70, v5                                  // 00000000ADA0: 680A0A46
	s_mov_b64 exec, s[88:89]                                   // 00000000ADA4: BEFE0158
	buffer_store_dwordx4 v[92:95], v5, s[36:39], 0 idxen       // 00000000ADA8: E07C2000 80095C05
	s_mov_b64 exec, s[84:85]                                   // 00000000ADB0: BEFE0154
	v_add_u32_e32 v5, s70, v5                                  // 00000000ADB4: 680A0A46
	s_mul_i32 s60, 12, s70                                     // 00000000ADB8: 923C468C
	v_add_u32_e32 v5, s60, v5                                  // 00000000ADBC: 680A0A3C
	s_barrier                                                  // 00000000ADC0: BF8A0000
	s_cmp_ge_i32 3, s73                                        // 00000000ADC4: BF034983
	s_cbranch_scc1 label_1C0B                                  // 00000000ADC8: BF850000

000000000000adcc <label_1C0B>:
	v_mov_b32_e32 v28, v152                                    // 00000000ADCC: 7E380398
	v_mov_b32_e32 v29, v153                                    // 00000000ADD0: 7E3A0399
	v_cvt_pkrtz_f16_f32 v152, v28, v29                         // 00000000ADD4: D2960098 00023B1C
	v_mov_b32_e32 v28, v154                                    // 00000000ADDC: 7E38039A
	v_mov_b32_e32 v29, v155                                    // 00000000ADE0: 7E3A039B
	v_cvt_pkrtz_f16_f32 v153, v28, v29                         // 00000000ADE4: D2960099 00023B1C
	v_mov_b32_e32 v28, v156                                    // 00000000ADEC: 7E38039C
	v_mov_b32_e32 v29, v157                                    // 00000000ADF0: 7E3A039D
	v_cvt_pkrtz_f16_f32 v154, v28, v29                         // 00000000ADF4: D296009A 00023B1C
	v_mov_b32_e32 v28, v158                                    // 00000000ADFC: 7E38039E
	v_mov_b32_e32 v29, v159                                    // 00000000AE00: 7E3A039F
	v_cvt_pkrtz_f16_f32 v155, v28, v29                         // 00000000AE04: D296009B 00023B1C
	v_mov_b32_e32 v28, v160                                    // 00000000AE0C: 7E3803A0
	v_mov_b32_e32 v29, v161                                    // 00000000AE10: 7E3A03A1
	v_cvt_pkrtz_f16_f32 v156, v28, v29                         // 00000000AE14: D296009C 00023B1C
	v_mov_b32_e32 v28, v162                                    // 00000000AE1C: 7E3803A2
	v_mov_b32_e32 v29, v163                                    // 00000000AE20: 7E3A03A3
	v_cvt_pkrtz_f16_f32 v157, v28, v29                         // 00000000AE24: D296009D 00023B1C
	v_mov_b32_e32 v28, v164                                    // 00000000AE2C: 7E3803A4
	v_mov_b32_e32 v29, v165                                    // 00000000AE30: 7E3A03A5
	v_cvt_pkrtz_f16_f32 v158, v28, v29                         // 00000000AE34: D296009E 00023B1C
	v_mov_b32_e32 v28, v166                                    // 00000000AE3C: 7E3803A6
	v_mov_b32_e32 v29, v167                                    // 00000000AE40: 7E3A03A7
	v_cvt_pkrtz_f16_f32 v159, v28, v29                         // 00000000AE44: D296009F 00023B1C
	v_mov_b32_e32 v28, v168                                    // 00000000AE4C: 7E3803A8
	v_mov_b32_e32 v29, v169                                    // 00000000AE50: 7E3A03A9
	v_cvt_pkrtz_f16_f32 v160, v28, v29                         // 00000000AE54: D29600A0 00023B1C
	v_mov_b32_e32 v28, v170                                    // 00000000AE5C: 7E3803AA
	v_mov_b32_e32 v29, v171                                    // 00000000AE60: 7E3A03AB
	v_cvt_pkrtz_f16_f32 v161, v28, v29                         // 00000000AE64: D29600A1 00023B1C
	v_mov_b32_e32 v28, v172                                    // 00000000AE6C: 7E3803AC
	v_mov_b32_e32 v29, v173                                    // 00000000AE70: 7E3A03AD
	v_cvt_pkrtz_f16_f32 v162, v28, v29                         // 00000000AE74: D29600A2 00023B1C
	v_mov_b32_e32 v28, v174                                    // 00000000AE7C: 7E3803AE
	v_mov_b32_e32 v29, v175                                    // 00000000AE80: 7E3A03AF
	v_cvt_pkrtz_f16_f32 v163, v28, v29                         // 00000000AE84: D29600A3 00023B1C
	v_mov_b32_e32 v28, v176                                    // 00000000AE8C: 7E3803B0
	v_mov_b32_e32 v29, v177                                    // 00000000AE90: 7E3A03B1
	v_cvt_pkrtz_f16_f32 v164, v28, v29                         // 00000000AE94: D29600A4 00023B1C
	v_mov_b32_e32 v28, v178                                    // 00000000AE9C: 7E3803B2
	v_mov_b32_e32 v29, v179                                    // 00000000AEA0: 7E3A03B3
	v_cvt_pkrtz_f16_f32 v165, v28, v29                         // 00000000AEA4: D29600A5 00023B1C
	v_mov_b32_e32 v28, v180                                    // 00000000AEAC: 7E3803B4
	v_mov_b32_e32 v29, v181                                    // 00000000AEB0: 7E3A03B5
	v_cvt_pkrtz_f16_f32 v166, v28, v29                         // 00000000AEB4: D29600A6 00023B1C
	v_mov_b32_e32 v28, v182                                    // 00000000AEBC: 7E3803B6
	v_mov_b32_e32 v29, v183                                    // 00000000AEC0: 7E3A03B7
	v_cvt_pkrtz_f16_f32 v167, v28, v29                         // 00000000AEC4: D29600A7 00023B1C
	ds_write_b64 v25, v[152:153]                               // 00000000AECC: D89A0000 00009819
	ds_write_b64 v25, v[154:155] offset:528                    // 00000000AED4: D89A0210 00009A19
	ds_write_b64 v25, v[156:157] offset:1056                   // 00000000AEDC: D89A0420 00009C19
	ds_write_b64 v25, v[158:159] offset:1584                   // 00000000AEE4: D89A0630 00009E19
	ds_write_b64 v25, v[160:161] offset:2112                   // 00000000AEEC: D89A0840 0000A019
	ds_write_b64 v25, v[162:163] offset:2640                   // 00000000AEF4: D89A0A50 0000A219
	ds_write_b64 v25, v[164:165] offset:3168                   // 00000000AEFC: D89A0C60 0000A419
	ds_write_b64 v25, v[166:167] offset:3696                   // 00000000AF04: D89A0E70 0000A619
	s_waitcnt lgkmcnt(0)                                       // 00000000AF0C: BF8CC07F
	s_barrier                                                  // 00000000AF10: BF8A0000
	ds_read_b64 v[152:153], v24                                // 00000000AF14: D8EC0000 98000018
	ds_read_b64 v[154:155], v24 offset:128                     // 00000000AF1C: D8EC0080 9A000018
	ds_read_b64 v[156:157], v24 offset:32                      // 00000000AF24: D8EC0020 9C000018
	ds_read_b64 v[158:159], v24 offset:160                     // 00000000AF2C: D8EC00A0 9E000018
	ds_read_b64 v[160:161], v24 offset:64                      // 00000000AF34: D8EC0040 A0000018
	ds_read_b64 v[162:163], v24 offset:192                     // 00000000AF3C: D8EC00C0 A2000018
	ds_read_b64 v[164:165], v24 offset:96                      // 00000000AF44: D8EC0060 A4000018
	ds_read_b64 v[166:167], v24 offset:224                     // 00000000AF4C: D8EC00E0 A6000018
	s_waitcnt lgkmcnt(0)                                       // 00000000AF54: BF8CC07F
	s_mov_b32 s70, s53                                         // 00000000AF58: BEC60035
	s_mov_b64 exec, s[88:89]                                   // 00000000AF5C: BEFE0158
	buffer_store_dwordx4 v[152:155], v6, s[40:43], 0 idxen     // 00000000AF60: E07C2000 800A9806
	s_mov_b64 exec, s[84:85]                                   // 00000000AF68: BEFE0154
	v_add_u32_e32 v6, s70, v6                                  // 00000000AF6C: 680C0C46
	s_mov_b64 exec, s[88:89]                                   // 00000000AF70: BEFE0158
	buffer_store_dwordx4 v[156:159], v6, s[40:43], 0 idxen     // 00000000AF74: E07C2000 800A9C06
	s_mov_b64 exec, s[84:85]                                   // 00000000AF7C: BEFE0154
	v_add_u32_e32 v6, s70, v6                                  // 00000000AF80: 680C0C46
	s_mov_b64 exec, s[88:89]                                   // 00000000AF84: BEFE0158
	buffer_store_dwordx4 v[160:163], v6, s[40:43], 0 idxen     // 00000000AF88: E07C2000 800AA006
	s_mov_b64 exec, s[84:85]                                   // 00000000AF90: BEFE0154
	v_add_u32_e32 v6, s70, v6                                  // 00000000AF94: 680C0C46
	s_mov_b64 exec, s[88:89]                                   // 00000000AF98: BEFE0158
	buffer_store_dwordx4 v[164:167], v6, s[40:43], 0 idxen     // 00000000AF9C: E07C2000 800AA406
	s_mov_b64 exec, s[84:85]                                   // 00000000AFA4: BEFE0154
	v_add_u32_e32 v6, s70, v6                                  // 00000000AFA8: 680C0C46
	s_mul_i32 s60, 12, s70                                     // 00000000AFAC: 923C468C
	v_add_u32_e32 v6, s60, v6                                  // 00000000AFB0: 680C0C3C
	s_cmp_ge_i32 1, s73                                        // 00000000AFB4: BF034981
	s_cbranch_scc1 label_1D7F                                  // 00000000AFB8: BF8500F8
	v_mov_b32_e32 v28, v184                                    // 00000000AFBC: 7E3803B8
	v_mov_b32_e32 v29, v185                                    // 00000000AFC0: 7E3A03B9
	v_cvt_pkrtz_f16_f32 v168, v28, v29                         // 00000000AFC4: D29600A8 00023B1C
	v_mov_b32_e32 v28, v186                                    // 00000000AFCC: 7E3803BA
	v_mov_b32_e32 v29, v187                                    // 00000000AFD0: 7E3A03BB
	v_cvt_pkrtz_f16_f32 v169, v28, v29                         // 00000000AFD4: D29600A9 00023B1C
	v_mov_b32_e32 v28, v188                                    // 00000000AFDC: 7E3803BC
	v_mov_b32_e32 v29, v189                                    // 00000000AFE0: 7E3A03BD
	v_cvt_pkrtz_f16_f32 v170, v28, v29                         // 00000000AFE4: D29600AA 00023B1C
	v_mov_b32_e32 v28, v190                                    // 00000000AFEC: 7E3803BE
	v_mov_b32_e32 v29, v191                                    // 00000000AFF0: 7E3A03BF
	v_cvt_pkrtz_f16_f32 v171, v28, v29                         // 00000000AFF4: D29600AB 00023B1C
	v_mov_b32_e32 v28, v192                                    // 00000000AFFC: 7E3803C0
	v_mov_b32_e32 v29, v193                                    // 00000000B000: 7E3A03C1
	v_cvt_pkrtz_f16_f32 v172, v28, v29                         // 00000000B004: D29600AC 00023B1C
	v_mov_b32_e32 v28, v194                                    // 00000000B00C: 7E3803C2
	v_mov_b32_e32 v29, v195                                    // 00000000B010: 7E3A03C3
	v_cvt_pkrtz_f16_f32 v173, v28, v29                         // 00000000B014: D29600AD 00023B1C
	v_mov_b32_e32 v28, v196                                    // 00000000B01C: 7E3803C4
	v_mov_b32_e32 v29, v197                                    // 00000000B020: 7E3A03C5
	v_cvt_pkrtz_f16_f32 v174, v28, v29                         // 00000000B024: D29600AE 00023B1C
	v_mov_b32_e32 v28, v198                                    // 00000000B02C: 7E3803C6
	v_mov_b32_e32 v29, v199                                    // 00000000B030: 7E3A03C7
	v_cvt_pkrtz_f16_f32 v175, v28, v29                         // 00000000B034: D29600AF 00023B1C
	v_mov_b32_e32 v28, v200                                    // 00000000B03C: 7E3803C8
	v_mov_b32_e32 v29, v201                                    // 00000000B040: 7E3A03C9
	v_cvt_pkrtz_f16_f32 v176, v28, v29                         // 00000000B044: D29600B0 00023B1C
	v_mov_b32_e32 v28, v202                                    // 00000000B04C: 7E3803CA
	v_mov_b32_e32 v29, v203                                    // 00000000B050: 7E3A03CB
	v_cvt_pkrtz_f16_f32 v177, v28, v29                         // 00000000B054: D29600B1 00023B1C
	v_mov_b32_e32 v28, v204                                    // 00000000B05C: 7E3803CC
	v_mov_b32_e32 v29, v205                                    // 00000000B060: 7E3A03CD
	v_cvt_pkrtz_f16_f32 v178, v28, v29                         // 00000000B064: D29600B2 00023B1C
	v_mov_b32_e32 v28, v206                                    // 00000000B06C: 7E3803CE
	v_mov_b32_e32 v29, v207                                    // 00000000B070: 7E3A03CF
	v_cvt_pkrtz_f16_f32 v179, v28, v29                         // 00000000B074: D29600B3 00023B1C
	v_mov_b32_e32 v28, v208                                    // 00000000B07C: 7E3803D0
	v_mov_b32_e32 v29, v209                                    // 00000000B080: 7E3A03D1
	v_cvt_pkrtz_f16_f32 v180, v28, v29                         // 00000000B084: D29600B4 00023B1C
	v_mov_b32_e32 v28, v210                                    // 00000000B08C: 7E3803D2
	v_mov_b32_e32 v29, v211                                    // 00000000B090: 7E3A03D3
	v_cvt_pkrtz_f16_f32 v181, v28, v29                         // 00000000B094: D29600B5 00023B1C
	v_mov_b32_e32 v28, v212                                    // 00000000B09C: 7E3803D4
	v_mov_b32_e32 v29, v213                                    // 00000000B0A0: 7E3A03D5
	v_cvt_pkrtz_f16_f32 v182, v28, v29                         // 00000000B0A4: D29600B6 00023B1C
	v_mov_b32_e32 v28, v214                                    // 00000000B0AC: 7E3803D6
	v_mov_b32_e32 v29, v215                                    // 00000000B0B0: 7E3A03D7
	v_cvt_pkrtz_f16_f32 v183, v28, v29                         // 00000000B0B4: D29600B7 00023B1C
	ds_write_b64 v25, v[168:169] offset:16896                  // 00000000B0BC: D89A4200 0000A819
	ds_write_b64 v25, v[170:171] offset:17424                  // 00000000B0C4: D89A4410 0000AA19
	ds_write_b64 v25, v[172:173] offset:17952                  // 00000000B0CC: D89A4620 0000AC19
	ds_write_b64 v25, v[174:175] offset:18480                  // 00000000B0D4: D89A4830 0000AE19
	ds_write_b64 v25, v[176:177] offset:19008                  // 00000000B0DC: D89A4A40 0000B019
	ds_write_b64 v25, v[178:179] offset:19536                  // 00000000B0E4: D89A4C50 0000B219
	ds_write_b64 v25, v[180:181] offset:20064                  // 00000000B0EC: D89A4E60 0000B419
	ds_write_b64 v25, v[182:183] offset:20592                  // 00000000B0F4: D89A5070 0000B619
	s_waitcnt lgkmcnt(0)                                       // 00000000B0FC: BF8CC07F
	s_barrier                                                  // 00000000B100: BF8A0000
	ds_read_b64 v[168:169], v24 offset:16896                   // 00000000B104: D8EC4200 A8000018
	ds_read_b64 v[170:171], v24 offset:17024                   // 00000000B10C: D8EC4280 AA000018
	ds_read_b64 v[172:173], v24 offset:16928                   // 00000000B114: D8EC4220 AC000018
	ds_read_b64 v[174:175], v24 offset:17056                   // 00000000B11C: D8EC42A0 AE000018
	ds_read_b64 v[176:177], v24 offset:16960                   // 00000000B124: D8EC4240 B0000018
	ds_read_b64 v[178:179], v24 offset:17088                   // 00000000B12C: D8EC42C0 B2000018
	ds_read_b64 v[180:181], v24 offset:16992                   // 00000000B134: D8EC4260 B4000018
	ds_read_b64 v[182:183], v24 offset:17120                   // 00000000B13C: D8EC42E0 B6000018
	s_waitcnt lgkmcnt(0)                                       // 00000000B144: BF8CC07F
	s_mov_b32 s70, s53                                         // 00000000B148: BEC60035
	s_mov_b64 exec, s[88:89]                                   // 00000000B14C: BEFE0158
	buffer_store_dwordx4 v[168:171], v6, s[40:43], 0 idxen     // 00000000B150: E07C2000 800AA806
	s_mov_b64 exec, s[84:85]                                   // 00000000B158: BEFE0154
	v_add_u32_e32 v6, s70, v6                                  // 00000000B15C: 680C0C46
	s_mov_b64 exec, s[88:89]                                   // 00000000B160: BEFE0158
	buffer_store_dwordx4 v[172:175], v6, s[40:43], 0 idxen     // 00000000B164: E07C2000 800AAC06
	s_mov_b64 exec, s[84:85]                                   // 00000000B16C: BEFE0154
	v_add_u32_e32 v6, s70, v6                                  // 00000000B170: 680C0C46
	s_mov_b64 exec, s[88:89]                                   // 00000000B174: BEFE0158
	buffer_store_dwordx4 v[176:179], v6, s[40:43], 0 idxen     // 00000000B178: E07C2000 800AB006
	s_mov_b64 exec, s[84:85]                                   // 00000000B180: BEFE0154
	v_add_u32_e32 v6, s70, v6                                  // 00000000B184: 680C0C46
	s_mov_b64 exec, s[88:89]                                   // 00000000B188: BEFE0158
	buffer_store_dwordx4 v[180:183], v6, s[40:43], 0 idxen     // 00000000B18C: E07C2000 800AB406
	s_mov_b64 exec, s[84:85]                                   // 00000000B194: BEFE0154
	v_add_u32_e32 v6, s70, v6                                  // 00000000B198: 680C0C46
	s_mul_i32 s60, 12, s70                                     // 00000000B19C: 923C468C
	v_add_u32_e32 v6, s60, v6                                  // 00000000B1A0: 680C0C3C
	s_cmp_ge_i32 2, s73                                        // 00000000B1A4: BF034982
	s_cbranch_scc1 label_1D7F                                  // 00000000B1A8: BF85007C
	v_mov_b32_e32 v28, v216                                    // 00000000B1AC: 7E3803D8
	v_mov_b32_e32 v29, v217                                    // 00000000B1B0: 7E3A03D9
	v_cvt_pkrtz_f16_f32 v184, v28, v29                         // 00000000B1B4: D29600B8 00023B1C
	v_mov_b32_e32 v28, v218                                    // 00000000B1BC: 7E3803DA
	v_mov_b32_e32 v29, v219                                    // 00000000B1C0: 7E3A03DB
	v_cvt_pkrtz_f16_f32 v185, v28, v29                         // 00000000B1C4: D29600B9 00023B1C
	v_mov_b32_e32 v28, v220                                    // 00000000B1CC: 7E3803DC
	v_mov_b32_e32 v29, v221                                    // 00000000B1D0: 7E3A03DD
	v_cvt_pkrtz_f16_f32 v186, v28, v29                         // 00000000B1D4: D29600BA 00023B1C
	v_mov_b32_e32 v28, v222                                    // 00000000B1DC: 7E3803DE
	v_mov_b32_e32 v29, v223                                    // 00000000B1E0: 7E3A03DF
	v_cvt_pkrtz_f16_f32 v187, v28, v29                         // 00000000B1E4: D29600BB 00023B1C
	v_mov_b32_e32 v28, v224                                    // 00000000B1EC: 7E3803E0
	v_mov_b32_e32 v29, v225                                    // 00000000B1F0: 7E3A03E1
	v_cvt_pkrtz_f16_f32 v188, v28, v29                         // 00000000B1F4: D29600BC 00023B1C
	v_mov_b32_e32 v28, v226                                    // 00000000B1FC: 7E3803E2
	v_mov_b32_e32 v29, v227                                    // 00000000B200: 7E3A03E3
	v_cvt_pkrtz_f16_f32 v189, v28, v29                         // 00000000B204: D29600BD 00023B1C
	v_mov_b32_e32 v28, v228                                    // 00000000B20C: 7E3803E4
	v_mov_b32_e32 v29, v229                                    // 00000000B210: 7E3A03E5
	v_cvt_pkrtz_f16_f32 v190, v28, v29                         // 00000000B214: D29600BE 00023B1C
	v_mov_b32_e32 v28, v230                                    // 00000000B21C: 7E3803E6
	v_mov_b32_e32 v29, v231                                    // 00000000B220: 7E3A03E7
	v_cvt_pkrtz_f16_f32 v191, v28, v29                         // 00000000B224: D29600BF 00023B1C
	v_mov_b32_e32 v28, v232                                    // 00000000B22C: 7E3803E8
	v_mov_b32_e32 v29, v233                                    // 00000000B230: 7E3A03E9
	v_cvt_pkrtz_f16_f32 v192, v28, v29                         // 00000000B234: D29600C0 00023B1C
	v_mov_b32_e32 v28, v234                                    // 00000000B23C: 7E3803EA
	v_mov_b32_e32 v29, v235                                    // 00000000B240: 7E3A03EB
	v_cvt_pkrtz_f16_f32 v193, v28, v29                         // 00000000B244: D29600C1 00023B1C
	v_mov_b32_e32 v28, v236                                    // 00000000B24C: 7E3803EC
	v_mov_b32_e32 v29, v237                                    // 00000000B250: 7E3A03ED
	v_cvt_pkrtz_f16_f32 v194, v28, v29                         // 00000000B254: D29600C2 00023B1C
	v_mov_b32_e32 v28, v238                                    // 00000000B25C: 7E3803EE
	v_mov_b32_e32 v29, v239                                    // 00000000B260: 7E3A03EF
	v_cvt_pkrtz_f16_f32 v195, v28, v29                         // 00000000B264: D29600C3 00023B1C
	v_mov_b32_e32 v28, v240                                    // 00000000B26C: 7E3803F0
	v_mov_b32_e32 v29, v241                                    // 00000000B270: 7E3A03F1
	v_cvt_pkrtz_f16_f32 v196, v28, v29                         // 00000000B274: D29600C4 00023B1C
	v_mov_b32_e32 v28, v242                                    // 00000000B27C: 7E3803F2
	v_mov_b32_e32 v29, v243                                    // 00000000B280: 7E3A03F3
	v_cvt_pkrtz_f16_f32 v197, v28, v29                         // 00000000B284: D29600C5 00023B1C
	v_mov_b32_e32 v28, v244                                    // 00000000B28C: 7E3803F4
	v_mov_b32_e32 v29, v245                                    // 00000000B290: 7E3A03F5
	v_cvt_pkrtz_f16_f32 v198, v28, v29                         // 00000000B294: D29600C6 00023B1C
	v_mov_b32_e32 v28, v246                                    // 00000000B29C: 7E3803F6
	v_mov_b32_e32 v29, v247                                    // 00000000B2A0: 7E3A03F7
	v_cvt_pkrtz_f16_f32 v199, v28, v29                         // 00000000B2A4: D29600C7 00023B1C
	ds_write_b64 v25, v[184:185] offset:33792                  // 00000000B2AC: D89A8400 0000B819
	ds_write_b64 v25, v[186:187] offset:34320                  // 00000000B2B4: D89A8610 0000BA19
	ds_write_b64 v25, v[188:189] offset:34848                  // 00000000B2BC: D89A8820 0000BC19
	ds_write_b64 v25, v[190:191] offset:35376                  // 00000000B2C4: D89A8A30 0000BE19
	ds_write_b64 v25, v[192:193] offset:35904                  // 00000000B2CC: D89A8C40 0000C019
	ds_write_b64 v25, v[194:195] offset:36432                  // 00000000B2D4: D89A8E50 0000C219
	ds_write_b64 v25, v[196:197] offset:36960                  // 00000000B2DC: D89A9060 0000C419
	ds_write_b64 v25, v[198:199] offset:37488                  // 00000000B2E4: D89A9270 0000C619
	s_waitcnt lgkmcnt(0)                                       // 00000000B2EC: BF8CC07F
	s_barrier                                                  // 00000000B2F0: BF8A0000
	ds_read_b64 v[184:185], v24 offset:33792                   // 00000000B2F4: D8EC8400 B8000018
	ds_read_b64 v[186:187], v24 offset:33920                   // 00000000B2FC: D8EC8480 BA000018
	ds_read_b64 v[188:189], v24 offset:33824                   // 00000000B304: D8EC8420 BC000018
	ds_read_b64 v[190:191], v24 offset:33952                   // 00000000B30C: D8EC84A0 BE000018
	ds_read_b64 v[192:193], v24 offset:33856                   // 00000000B314: D8EC8440 C0000018
	ds_read_b64 v[194:195], v24 offset:33984                   // 00000000B31C: D8EC84C0 C2000018
	ds_read_b64 v[196:197], v24 offset:33888                   // 00000000B324: D8EC8460 C4000018
	ds_read_b64 v[198:199], v24 offset:34016                   // 00000000B32C: D8EC84E0 C6000018
	s_waitcnt lgkmcnt(0)                                       // 00000000B334: BF8CC07F
	s_mov_b32 s70, s53                                         // 00000000B338: BEC60035
	s_mov_b64 exec, s[88:89]                                   // 00000000B33C: BEFE0158
	buffer_store_dwordx4 v[184:187], v6, s[40:43], 0 idxen     // 00000000B340: E07C2000 800AB806
	s_mov_b64 exec, s[84:85]                                   // 00000000B348: BEFE0154
	v_add_u32_e32 v6, s70, v6                                  // 00000000B34C: 680C0C46
	s_mov_b64 exec, s[88:89]                                   // 00000000B350: BEFE0158
	buffer_store_dwordx4 v[188:191], v6, s[40:43], 0 idxen     // 00000000B354: E07C2000 800ABC06
	s_mov_b64 exec, s[84:85]                                   // 00000000B35C: BEFE0154
	v_add_u32_e32 v6, s70, v6                                  // 00000000B360: 680C0C46
	s_mov_b64 exec, s[88:89]                                   // 00000000B364: BEFE0158
	buffer_store_dwordx4 v[192:195], v6, s[40:43], 0 idxen     // 00000000B368: E07C2000 800AC006
	s_mov_b64 exec, s[84:85]                                   // 00000000B370: BEFE0154
	v_add_u32_e32 v6, s70, v6                                  // 00000000B374: 680C0C46
	s_mov_b64 exec, s[88:89]                                   // 00000000B378: BEFE0158
	buffer_store_dwordx4 v[196:199], v6, s[40:43], 0 idxen     // 00000000B37C: E07C2000 800AC406
	s_mov_b64 exec, s[84:85]                                   // 00000000B384: BEFE0154
	v_add_u32_e32 v6, s70, v6                                  // 00000000B388: 680C0C46
	s_mul_i32 s60, 12, s70                                     // 00000000B38C: 923C468C
	v_add_u32_e32 v6, s60, v6                                  // 00000000B390: 680C0C3C
	s_cmp_ge_i32 3, s73                                        // 00000000B394: BF034983
	s_cbranch_scc1 label_1D7F                                  // 00000000B398: BF850000

000000000000b39c <label_1D7F>:
	s_waitcnt vmcnt(0) expcnt(0) lgkmcnt(0)                    // 00000000B39C: BF8C0000
	s_endpgm                                                   // 00000000B3A0: BF810000
